;; amdgpu-corpus repo=ROCm/rocSOLVER kind=compiled arch=gfx1250 opt=O3
	.amdgcn_target "amdgcn-amd-amdhsa--gfx1250"
	.amdhsa_code_object_version 6
	.section	.text._ZN9rocsolver6v33100L37conj_unit_forward_substitution_kernelI19rocblas_complex_numIdEiPS3_EEvT0_S5_T1_S5_S5_llS6_S5_S5_ll,"axG",@progbits,_ZN9rocsolver6v33100L37conj_unit_forward_substitution_kernelI19rocblas_complex_numIdEiPS3_EEvT0_S5_T1_S5_S5_llS6_S5_S5_ll,comdat
	.globl	_ZN9rocsolver6v33100L37conj_unit_forward_substitution_kernelI19rocblas_complex_numIdEiPS3_EEvT0_S5_T1_S5_S5_llS6_S5_S5_ll ; -- Begin function _ZN9rocsolver6v33100L37conj_unit_forward_substitution_kernelI19rocblas_complex_numIdEiPS3_EEvT0_S5_T1_S5_S5_llS6_S5_S5_ll
	.p2align	8
	.type	_ZN9rocsolver6v33100L37conj_unit_forward_substitution_kernelI19rocblas_complex_numIdEiPS3_EEvT0_S5_T1_S5_S5_llS6_S5_S5_ll,@function
_ZN9rocsolver6v33100L37conj_unit_forward_substitution_kernelI19rocblas_complex_numIdEiPS3_EEvT0_S5_T1_S5_S5_llS6_S5_S5_ll: ; @_ZN9rocsolver6v33100L37conj_unit_forward_substitution_kernelI19rocblas_complex_numIdEiPS3_EEvT0_S5_T1_S5_S5_llS6_S5_S5_ll
; %bb.0:
	s_clause 0x1
	s_load_u16 s3, s[0:1], 0x56
	s_load_b64 s[12:13], s[0:1], 0x0
	s_bfe_u32 s2, ttmp6, 0x40010
	s_and_b32 s4, ttmp7, 0xffff
	s_add_co_i32 s2, s2, 1
	s_bfe_u32 s6, ttmp6, 0x40004
	s_mul_i32 s5, s4, s2
	s_getreg_b32 s2, hwreg(HW_REG_IB_STS2, 6, 4)
	v_bfe_u32 v6, v0, 10, 10
	s_add_co_i32 s6, s6, s5
	s_cmp_eq_u32 s2, 0
	s_mov_b32 s15, 0
	s_cselect_b32 s4, s4, s6
	s_wait_kmcnt 0x0
	v_mad_u32 v1, s4, s3, v6
	s_mov_b32 s3, exec_lo
	s_delay_alu instid0(VALU_DEP_1)
	v_cmpx_gt_i32_e64 s13, v1
	s_cbranch_execz .LBB0_9
; %bb.1:
	s_load_b256 s[4:11], s[0:1], 0x28
	v_and_b32_e32 v10, 0x3ff, v0
	s_bfe_u32 s3, ttmp6, 0x40014
	s_bfe_u32 s13, ttmp6, 0x40008
	s_add_co_i32 s3, s3, 1
	s_wait_kmcnt 0x0
	v_mul_lo_u32 v0, s6, v10
	s_lshr_b32 s6, ttmp7, 16
	s_delay_alu instid0(SALU_CYCLE_1) | instskip(NEXT) | instid1(SALU_CYCLE_1)
	s_mul_i32 s3, s6, s3
	s_add_co_i32 s13, s13, s3
	s_cmp_eq_u32 s2, 0
	s_cselect_b32 s14, s6, s13
	s_delay_alu instid0(SALU_CYCLE_1) | instskip(NEXT) | instid1(VALU_DEP_1)
	s_mul_u64 s[2:3], s[10:11], s[14:15]
	v_mad_u32 v4, v1, s7, v0
	s_lshl_b64 s[2:3], s[2:3], 4
	s_delay_alu instid0(SALU_CYCLE_1)
	s_add_nc_u64 s[2:3], s[4:5], s[2:3]
	s_lshl_b64 s[4:5], s[8:9], 4
	s_cmp_lt_i32 s12, 2
	s_add_nc_u64 s[2:3], s[2:3], s[4:5]
	global_load_b128 v[0:3], v4, s[2:3] scale_offset
	v_ashrrev_i32_e32 v5, 31, v4
	s_cbranch_scc1 .LBB0_8
; %bb.2:
	s_load_b256 s[4:11], s[0:1], 0x8
	v_lshl_add_u32 v12, v6, 4, 0
	s_wait_kmcnt 0x0
	v_mul_lo_u32 v11, s6, v10
	s_mul_u64 s[0:1], s[10:11], s[14:15]
	s_delay_alu instid0(SALU_CYCLE_1) | instskip(NEXT) | instid1(SALU_CYCLE_1)
	s_lshl_b64 s[0:1], s[0:1], 4
	s_add_nc_u64 s[0:1], s[4:5], s[0:1]
	s_lshl_b64 s[4:5], s[8:9], 4
	s_delay_alu instid0(SALU_CYCLE_1)
	s_add_nc_u64 s[0:1], s[0:1], s[4:5]
	s_mov_b32 s4, 0
	s_add_co_i32 s5, s12, -1
	s_branch .LBB0_4
.LBB0_3:                                ;   in Loop: Header=BB0_4 Depth=1
	s_or_b32 exec_lo, exec_lo, s6
	s_delay_alu instid0(VALU_DEP_2) | instskip(NEXT) | instid1(VALU_DEP_2)
	v_add_f64_e64 v[0:1], v[0:1], -v[6:7]
	v_dual_add_f64 v[2:3], v[2:3], -v[8:9] :: v_dual_add_nc_u32 v11, s7, v11
	s_add_co_i32 s4, s4, 1
	s_delay_alu instid0(SALU_CYCLE_1)
	s_cmp_eq_u32 s5, s4
	s_cbranch_scc1 .LBB0_8
.LBB0_4:                                ; =>This Inner Loop Header: Depth=1
	s_mov_b32 s6, exec_lo
	s_wait_loadcnt 0x0
	s_barrier_signal -1
	s_barrier_wait -1
	v_cmpx_eq_u32_e64 s4, v10
; %bb.5:                                ;   in Loop: Header=BB0_4 Depth=1
	ds_store_2addr_b64 v12, v[0:1], v[2:3] offset1:1
; %bb.6:                                ;   in Loop: Header=BB0_4 Depth=1
	s_or_b32 exec_lo, exec_lo, s6
	v_mov_b64_e32 v[8:9], 0
	v_mov_b64_e32 v[6:7], 0
	s_mov_b32 s6, exec_lo
	s_wait_dscnt 0x0
	s_barrier_signal -1
	s_barrier_wait -1
	v_cmpx_lt_u32_e64 s4, v10
	s_cbranch_execz .LBB0_3
; %bb.7:                                ;   in Loop: Header=BB0_4 Depth=1
	global_load_b128 v[14:17], v11, s[0:1] scale_offset
	ds_load_2addr_b64 v[18:21], v12 offset1:1
	s_wait_loadcnt_dscnt 0x0
	v_mul_f64_e32 v[6:7], v[16:17], v[20:21]
	v_mul_f64_e32 v[8:9], v[16:17], v[18:19]
	s_delay_alu instid0(VALU_DEP_2) | instskip(NEXT) | instid1(VALU_DEP_2)
	v_fmac_f64_e32 v[6:7], v[14:15], v[18:19]
	v_fma_f64 v[8:9], v[14:15], v[20:21], -v[8:9]
	s_branch .LBB0_3
.LBB0_8:
	s_wait_xcnt 0x0
	s_delay_alu instid0(VALU_DEP_1)
	v_lshl_add_u64 v[4:5], v[4:5], 4, s[2:3]
	s_wait_loadcnt 0x0
	global_store_b128 v[4:5], v[0:3], off
.LBB0_9:
	s_endpgm
	.section	.rodata,"a",@progbits
	.p2align	6, 0x0
	.amdhsa_kernel _ZN9rocsolver6v33100L37conj_unit_forward_substitution_kernelI19rocblas_complex_numIdEiPS3_EEvT0_S5_T1_S5_S5_llS6_S5_S5_ll
		.amdhsa_group_segment_fixed_size 0
		.amdhsa_private_segment_fixed_size 0
		.amdhsa_kernarg_size 328
		.amdhsa_user_sgpr_count 2
		.amdhsa_user_sgpr_dispatch_ptr 0
		.amdhsa_user_sgpr_queue_ptr 0
		.amdhsa_user_sgpr_kernarg_segment_ptr 1
		.amdhsa_user_sgpr_dispatch_id 0
		.amdhsa_user_sgpr_kernarg_preload_length 0
		.amdhsa_user_sgpr_kernarg_preload_offset 0
		.amdhsa_user_sgpr_private_segment_size 0
		.amdhsa_wavefront_size32 1
		.amdhsa_uses_dynamic_stack 0
		.amdhsa_enable_private_segment 0
		.amdhsa_system_sgpr_workgroup_id_x 1
		.amdhsa_system_sgpr_workgroup_id_y 1
		.amdhsa_system_sgpr_workgroup_id_z 1
		.amdhsa_system_sgpr_workgroup_info 0
		.amdhsa_system_vgpr_workitem_id 1
		.amdhsa_next_free_vgpr 22
		.amdhsa_next_free_sgpr 16
		.amdhsa_named_barrier_count 0
		.amdhsa_reserve_vcc 0
		.amdhsa_float_round_mode_32 0
		.amdhsa_float_round_mode_16_64 0
		.amdhsa_float_denorm_mode_32 3
		.amdhsa_float_denorm_mode_16_64 3
		.amdhsa_fp16_overflow 0
		.amdhsa_memory_ordered 1
		.amdhsa_forward_progress 1
		.amdhsa_inst_pref_size 5
		.amdhsa_round_robin_scheduling 0
		.amdhsa_exception_fp_ieee_invalid_op 0
		.amdhsa_exception_fp_denorm_src 0
		.amdhsa_exception_fp_ieee_div_zero 0
		.amdhsa_exception_fp_ieee_overflow 0
		.amdhsa_exception_fp_ieee_underflow 0
		.amdhsa_exception_fp_ieee_inexact 0
		.amdhsa_exception_int_div_zero 0
	.end_amdhsa_kernel
	.section	.text._ZN9rocsolver6v33100L37conj_unit_forward_substitution_kernelI19rocblas_complex_numIdEiPS3_EEvT0_S5_T1_S5_S5_llS6_S5_S5_ll,"axG",@progbits,_ZN9rocsolver6v33100L37conj_unit_forward_substitution_kernelI19rocblas_complex_numIdEiPS3_EEvT0_S5_T1_S5_S5_llS6_S5_S5_ll,comdat
.Lfunc_end0:
	.size	_ZN9rocsolver6v33100L37conj_unit_forward_substitution_kernelI19rocblas_complex_numIdEiPS3_EEvT0_S5_T1_S5_S5_llS6_S5_S5_ll, .Lfunc_end0-_ZN9rocsolver6v33100L37conj_unit_forward_substitution_kernelI19rocblas_complex_numIdEiPS3_EEvT0_S5_T1_S5_S5_llS6_S5_S5_ll
                                        ; -- End function
	.set _ZN9rocsolver6v33100L37conj_unit_forward_substitution_kernelI19rocblas_complex_numIdEiPS3_EEvT0_S5_T1_S5_S5_llS6_S5_S5_ll.num_vgpr, 22
	.set _ZN9rocsolver6v33100L37conj_unit_forward_substitution_kernelI19rocblas_complex_numIdEiPS3_EEvT0_S5_T1_S5_S5_llS6_S5_S5_ll.num_agpr, 0
	.set _ZN9rocsolver6v33100L37conj_unit_forward_substitution_kernelI19rocblas_complex_numIdEiPS3_EEvT0_S5_T1_S5_S5_llS6_S5_S5_ll.numbered_sgpr, 16
	.set _ZN9rocsolver6v33100L37conj_unit_forward_substitution_kernelI19rocblas_complex_numIdEiPS3_EEvT0_S5_T1_S5_S5_llS6_S5_S5_ll.num_named_barrier, 0
	.set _ZN9rocsolver6v33100L37conj_unit_forward_substitution_kernelI19rocblas_complex_numIdEiPS3_EEvT0_S5_T1_S5_S5_llS6_S5_S5_ll.private_seg_size, 0
	.set _ZN9rocsolver6v33100L37conj_unit_forward_substitution_kernelI19rocblas_complex_numIdEiPS3_EEvT0_S5_T1_S5_S5_llS6_S5_S5_ll.uses_vcc, 0
	.set _ZN9rocsolver6v33100L37conj_unit_forward_substitution_kernelI19rocblas_complex_numIdEiPS3_EEvT0_S5_T1_S5_S5_llS6_S5_S5_ll.uses_flat_scratch, 0
	.set _ZN9rocsolver6v33100L37conj_unit_forward_substitution_kernelI19rocblas_complex_numIdEiPS3_EEvT0_S5_T1_S5_S5_llS6_S5_S5_ll.has_dyn_sized_stack, 0
	.set _ZN9rocsolver6v33100L37conj_unit_forward_substitution_kernelI19rocblas_complex_numIdEiPS3_EEvT0_S5_T1_S5_S5_llS6_S5_S5_ll.has_recursion, 0
	.set _ZN9rocsolver6v33100L37conj_unit_forward_substitution_kernelI19rocblas_complex_numIdEiPS3_EEvT0_S5_T1_S5_S5_llS6_S5_S5_ll.has_indirect_call, 0
	.section	.AMDGPU.csdata,"",@progbits
; Kernel info:
; codeLenInByte = 516
; TotalNumSgprs: 16
; NumVgprs: 22
; ScratchSize: 0
; MemoryBound: 0
; FloatMode: 240
; IeeeMode: 1
; LDSByteSize: 0 bytes/workgroup (compile time only)
; SGPRBlocks: 0
; VGPRBlocks: 1
; NumSGPRsForWavesPerEU: 16
; NumVGPRsForWavesPerEU: 22
; NamedBarCnt: 0
; Occupancy: 16
; WaveLimiterHint : 0
; COMPUTE_PGM_RSRC2:SCRATCH_EN: 0
; COMPUTE_PGM_RSRC2:USER_SGPR: 2
; COMPUTE_PGM_RSRC2:TRAP_HANDLER: 0
; COMPUTE_PGM_RSRC2:TGID_X_EN: 1
; COMPUTE_PGM_RSRC2:TGID_Y_EN: 1
; COMPUTE_PGM_RSRC2:TGID_Z_EN: 1
; COMPUTE_PGM_RSRC2:TIDIG_COMP_CNT: 1
	.section	.text._ZN9rocsolver6v33100L40conj_nonunit_forward_substitution_kernelI19rocblas_complex_numIdEiPS3_EEvT0_S5_T1_S5_S5_llS6_S5_S5_ll,"axG",@progbits,_ZN9rocsolver6v33100L40conj_nonunit_forward_substitution_kernelI19rocblas_complex_numIdEiPS3_EEvT0_S5_T1_S5_S5_llS6_S5_S5_ll,comdat
	.globl	_ZN9rocsolver6v33100L40conj_nonunit_forward_substitution_kernelI19rocblas_complex_numIdEiPS3_EEvT0_S5_T1_S5_S5_llS6_S5_S5_ll ; -- Begin function _ZN9rocsolver6v33100L40conj_nonunit_forward_substitution_kernelI19rocblas_complex_numIdEiPS3_EEvT0_S5_T1_S5_S5_llS6_S5_S5_ll
	.p2align	8
	.type	_ZN9rocsolver6v33100L40conj_nonunit_forward_substitution_kernelI19rocblas_complex_numIdEiPS3_EEvT0_S5_T1_S5_S5_llS6_S5_S5_ll,@function
_ZN9rocsolver6v33100L40conj_nonunit_forward_substitution_kernelI19rocblas_complex_numIdEiPS3_EEvT0_S5_T1_S5_S5_llS6_S5_S5_ll: ; @_ZN9rocsolver6v33100L40conj_nonunit_forward_substitution_kernelI19rocblas_complex_numIdEiPS3_EEvT0_S5_T1_S5_S5_llS6_S5_S5_ll
; %bb.0:
	s_clause 0x1
	s_load_u16 s3, s[0:1], 0x56
	s_load_b64 s[12:13], s[0:1], 0x0
	s_bfe_u32 s2, ttmp6, 0x40010
	s_and_b32 s4, ttmp7, 0xffff
	s_add_co_i32 s2, s2, 1
	s_bfe_u32 s6, ttmp6, 0x40004
	s_mul_i32 s5, s4, s2
	s_getreg_b32 s2, hwreg(HW_REG_IB_STS2, 6, 4)
	v_bfe_u32 v4, v0, 10, 10
	s_add_co_i32 s6, s6, s5
	s_cmp_eq_u32 s2, 0
	s_mov_b32 s15, 0
	s_cselect_b32 s4, s4, s6
	s_wait_kmcnt 0x0
	v_mad_u32 v1, s4, s3, v4
	s_mov_b32 s3, exec_lo
	s_delay_alu instid0(VALU_DEP_1)
	v_cmpx_gt_i32_e64 s13, v1
	s_cbranch_execz .LBB1_19
; %bb.1:
	s_load_b256 s[4:11], s[0:1], 0x28
	v_and_b32_e32 v12, 0x3ff, v0
	s_bfe_u32 s3, ttmp6, 0x40014
	s_bfe_u32 s13, ttmp6, 0x40008
	s_add_co_i32 s3, s3, 1
	s_wait_kmcnt 0x0
	v_mul_lo_u32 v0, s6, v12
	s_lshr_b32 s6, ttmp7, 16
	s_delay_alu instid0(SALU_CYCLE_1) | instskip(NEXT) | instid1(SALU_CYCLE_1)
	s_mul_i32 s3, s6, s3
	s_add_co_i32 s13, s13, s3
	s_cmp_eq_u32 s2, 0
	s_cselect_b32 s14, s6, s13
	s_delay_alu instid0(SALU_CYCLE_1) | instskip(NEXT) | instid1(VALU_DEP_1)
	s_mul_u64 s[2:3], s[10:11], s[14:15]
	v_mad_u32 v8, v1, s7, v0
	s_lshl_b64 s[2:3], s[2:3], 4
	s_delay_alu instid0(SALU_CYCLE_1) | instskip(SKIP_1) | instid1(SALU_CYCLE_1)
	s_add_nc_u64 s[2:3], s[4:5], s[2:3]
	s_lshl_b64 s[4:5], s[8:9], 4
	s_add_nc_u64 s[2:3], s[2:3], s[4:5]
	s_load_b256 s[4:11], s[0:1], 0x8
	global_load_b128 v[0:3], v8, s[2:3] scale_offset
	v_ashrrev_i32_e32 v9, 31, v8
	s_wait_kmcnt 0x0
	s_mul_u64 s[0:1], s[10:11], s[14:15]
	s_lshl_b64 s[8:9], s[8:9], 4
	s_lshl_b64 s[0:1], s[0:1], 4
	s_delay_alu instid0(SALU_CYCLE_1)
	s_add_nc_u64 s[0:1], s[4:5], s[0:1]
	s_add_co_i32 s4, s12, -1
	s_cmp_lt_i32 s12, 2
	s_add_nc_u64 s[0:1], s[0:1], s[8:9]
	s_cbranch_scc1 .LBB1_12
; %bb.2:
	s_add_co_i32 s5, s7, s6
	v_mul_lo_u32 v13, s6, v12
	v_mul_lo_u32 v6, s5, v12
	v_lshl_add_u32 v14, v4, 4, 0
	s_mov_b32 s5, 0
	s_delay_alu instid0(VALU_DEP_2) | instskip(NEXT) | instid1(VALU_DEP_1)
	v_ashrrev_i32_e32 v7, 31, v6
	v_lshl_add_u64 v[10:11], v[6:7], 4, s[0:1]
	s_branch .LBB1_4
.LBB1_3:                                ;   in Loop: Header=BB1_4 Depth=1
	s_or_b32 exec_lo, exec_lo, s8
	s_delay_alu instid0(VALU_DEP_2) | instskip(NEXT) | instid1(VALU_DEP_2)
	v_add_f64_e64 v[0:1], v[0:1], -v[4:5]
	v_dual_add_f64 v[2:3], v[2:3], -v[6:7] :: v_dual_add_nc_u32 v13, s7, v13
	s_add_co_i32 s5, s5, 1
	s_delay_alu instid0(SALU_CYCLE_1)
	s_cmp_eq_u32 s4, s5
	s_cbranch_scc1 .LBB1_12
.LBB1_4:                                ; =>This Inner Loop Header: Depth=1
	s_mov_b32 s8, exec_lo
	s_wait_loadcnt 0x0
	s_barrier_signal -1
	s_barrier_wait -1
	s_wait_xcnt 0x0
	v_cmpx_eq_u32_e64 s5, v12
	s_cbranch_execz .LBB1_10
; %bb.5:                                ;   in Loop: Header=BB1_4 Depth=1
	global_load_b128 v[4:7], v[10:11], off
	s_wait_loadcnt 0x0
	v_cmp_ngt_f64_e64 s9, |v[4:5]|, |v[6:7]|
	s_and_saveexec_b32 s10, s9
	s_delay_alu instid0(SALU_CYCLE_1)
	s_xor_b32 s9, exec_lo, s10
	s_cbranch_execz .LBB1_7
; %bb.6:                                ;   in Loop: Header=BB1_4 Depth=1
	v_div_scale_f64 v[16:17], null, -v[6:7], -v[6:7], v[4:5]
	v_div_scale_f64 v[22:23], vcc_lo, v[4:5], -v[6:7], v[4:5]
	s_delay_alu instid0(VALU_DEP_2) | instskip(SKIP_1) | instid1(TRANS32_DEP_1)
	v_rcp_f64_e32 v[18:19], v[16:17]
	v_nop
	v_fma_f64 v[20:21], -v[16:17], v[18:19], 1.0
	s_delay_alu instid0(VALU_DEP_1) | instskip(NEXT) | instid1(VALU_DEP_1)
	v_fmac_f64_e32 v[18:19], v[18:19], v[20:21]
	v_fma_f64 v[20:21], -v[16:17], v[18:19], 1.0
	s_delay_alu instid0(VALU_DEP_1) | instskip(NEXT) | instid1(VALU_DEP_1)
	v_fmac_f64_e32 v[18:19], v[18:19], v[20:21]
	v_mul_f64_e32 v[20:21], v[22:23], v[18:19]
	s_delay_alu instid0(VALU_DEP_1) | instskip(NEXT) | instid1(VALU_DEP_1)
	v_fma_f64 v[16:17], -v[16:17], v[20:21], v[22:23]
	v_div_fmas_f64 v[16:17], v[16:17], v[18:19], v[20:21]
	s_delay_alu instid0(VALU_DEP_1) | instskip(NEXT) | instid1(VALU_DEP_1)
	v_div_fixup_f64 v[16:17], v[16:17], -v[6:7], v[4:5]
	v_fma_f64 v[4:5], v[4:5], v[16:17], -v[6:7]
	s_delay_alu instid0(VALU_DEP_1) | instskip(SKIP_1) | instid1(VALU_DEP_2)
	v_div_scale_f64 v[6:7], null, v[4:5], v[4:5], 1.0
	v_div_scale_f64 v[22:23], vcc_lo, 1.0, v[4:5], 1.0
	v_rcp_f64_e32 v[18:19], v[6:7]
	v_nop
	s_delay_alu instid0(TRANS32_DEP_1) | instskip(NEXT) | instid1(VALU_DEP_1)
	v_fma_f64 v[20:21], -v[6:7], v[18:19], 1.0
	v_fmac_f64_e32 v[18:19], v[18:19], v[20:21]
	s_delay_alu instid0(VALU_DEP_1) | instskip(NEXT) | instid1(VALU_DEP_1)
	v_fma_f64 v[20:21], -v[6:7], v[18:19], 1.0
	v_fmac_f64_e32 v[18:19], v[18:19], v[20:21]
	s_delay_alu instid0(VALU_DEP_1) | instskip(NEXT) | instid1(VALU_DEP_1)
	v_mul_f64_e32 v[20:21], v[22:23], v[18:19]
	v_fma_f64 v[6:7], -v[6:7], v[20:21], v[22:23]
	s_delay_alu instid0(VALU_DEP_1) | instskip(NEXT) | instid1(VALU_DEP_1)
	v_div_fmas_f64 v[6:7], v[6:7], v[18:19], v[20:21]
	v_div_fixup_f64 v[4:5], v[6:7], v[4:5], 1.0
	v_fma_f64 v[6:7], v[0:1], v[16:17], v[2:3]
	v_fma_f64 v[0:1], v[2:3], v[16:17], -v[0:1]
	s_delay_alu instid0(VALU_DEP_2) | instskip(NEXT) | instid1(VALU_DEP_2)
	v_mul_f64_e32 v[6:7], v[6:7], v[4:5]
	v_mul_f64_e32 v[2:3], v[0:1], v[4:5]
	s_delay_alu instid0(VALU_DEP_2)
	v_mov_b64_e32 v[0:1], v[6:7]
                                        ; implicit-def: $vgpr4_vgpr5
.LBB1_7:                                ;   in Loop: Header=BB1_4 Depth=1
	s_and_not1_saveexec_b32 s9, s9
	s_cbranch_execz .LBB1_9
; %bb.8:                                ;   in Loop: Header=BB1_4 Depth=1
	v_div_scale_f64 v[16:17], null, v[4:5], v[4:5], -v[6:7]
	v_div_scale_f64 v[22:23], vcc_lo, -v[6:7], v[4:5], -v[6:7]
	s_delay_alu instid0(VALU_DEP_2) | instskip(SKIP_1) | instid1(TRANS32_DEP_1)
	v_rcp_f64_e32 v[18:19], v[16:17]
	v_nop
	v_fma_f64 v[20:21], -v[16:17], v[18:19], 1.0
	s_delay_alu instid0(VALU_DEP_1) | instskip(NEXT) | instid1(VALU_DEP_1)
	v_fmac_f64_e32 v[18:19], v[18:19], v[20:21]
	v_fma_f64 v[20:21], -v[16:17], v[18:19], 1.0
	s_delay_alu instid0(VALU_DEP_1) | instskip(NEXT) | instid1(VALU_DEP_1)
	v_fmac_f64_e32 v[18:19], v[18:19], v[20:21]
	v_mul_f64_e32 v[20:21], v[22:23], v[18:19]
	s_delay_alu instid0(VALU_DEP_1) | instskip(NEXT) | instid1(VALU_DEP_1)
	v_fma_f64 v[16:17], -v[16:17], v[20:21], v[22:23]
	v_div_fmas_f64 v[16:17], v[16:17], v[18:19], v[20:21]
	s_delay_alu instid0(VALU_DEP_1) | instskip(NEXT) | instid1(VALU_DEP_1)
	v_div_fixup_f64 v[16:17], v[16:17], v[4:5], -v[6:7]
	v_fma_f64 v[4:5], -v[6:7], v[16:17], v[4:5]
	s_delay_alu instid0(VALU_DEP_1) | instskip(SKIP_1) | instid1(VALU_DEP_2)
	v_div_scale_f64 v[6:7], null, v[4:5], v[4:5], 1.0
	v_div_scale_f64 v[22:23], vcc_lo, 1.0, v[4:5], 1.0
	v_rcp_f64_e32 v[18:19], v[6:7]
	v_nop
	s_delay_alu instid0(TRANS32_DEP_1) | instskip(NEXT) | instid1(VALU_DEP_1)
	v_fma_f64 v[20:21], -v[6:7], v[18:19], 1.0
	v_fmac_f64_e32 v[18:19], v[18:19], v[20:21]
	s_delay_alu instid0(VALU_DEP_1) | instskip(NEXT) | instid1(VALU_DEP_1)
	v_fma_f64 v[20:21], -v[6:7], v[18:19], 1.0
	v_fmac_f64_e32 v[18:19], v[18:19], v[20:21]
	s_delay_alu instid0(VALU_DEP_1) | instskip(NEXT) | instid1(VALU_DEP_1)
	v_mul_f64_e32 v[20:21], v[22:23], v[18:19]
	v_fma_f64 v[6:7], -v[6:7], v[20:21], v[22:23]
	s_delay_alu instid0(VALU_DEP_1) | instskip(NEXT) | instid1(VALU_DEP_1)
	v_div_fmas_f64 v[6:7], v[6:7], v[18:19], v[20:21]
	v_div_fixup_f64 v[4:5], v[6:7], v[4:5], 1.0
	v_fma_f64 v[6:7], v[2:3], v[16:17], v[0:1]
	v_fma_f64 v[0:1], -v[0:1], v[16:17], v[2:3]
	s_delay_alu instid0(VALU_DEP_2) | instskip(NEXT) | instid1(VALU_DEP_2)
	v_mul_f64_e32 v[6:7], v[6:7], v[4:5]
	v_mul_f64_e32 v[2:3], v[0:1], v[4:5]
	s_delay_alu instid0(VALU_DEP_2)
	v_mov_b64_e32 v[0:1], v[6:7]
.LBB1_9:                                ;   in Loop: Header=BB1_4 Depth=1
	s_or_b32 exec_lo, exec_lo, s9
	ds_store_2addr_b64 v14, v[0:1], v[2:3] offset1:1
.LBB1_10:                               ;   in Loop: Header=BB1_4 Depth=1
	s_or_b32 exec_lo, exec_lo, s8
	v_mov_b64_e32 v[4:5], 0
	v_mov_b64_e32 v[6:7], 0
	s_mov_b32 s8, exec_lo
	s_wait_dscnt 0x0
	s_barrier_signal -1
	s_barrier_wait -1
	v_cmpx_lt_u32_e64 s5, v12
	s_cbranch_execz .LBB1_3
; %bb.11:                               ;   in Loop: Header=BB1_4 Depth=1
	global_load_b128 v[16:19], v13, s[0:1] scale_offset
	ds_load_2addr_b64 v[20:23], v14 offset1:1
	s_wait_loadcnt_dscnt 0x0
	v_mul_f64_e32 v[4:5], v[18:19], v[22:23]
	v_mul_f64_e32 v[6:7], v[18:19], v[20:21]
	s_delay_alu instid0(VALU_DEP_2) | instskip(NEXT) | instid1(VALU_DEP_2)
	v_fmac_f64_e32 v[4:5], v[16:17], v[20:21]
	v_fma_f64 v[6:7], v[16:17], v[22:23], -v[6:7]
	s_branch .LBB1_3
.LBB1_12:
	s_wait_xcnt 0x0
	v_lshl_add_u64 v[8:9], v[8:9], 4, s[2:3]
	s_mov_b32 s2, exec_lo
	v_cmpx_eq_u32_e64 s4, v12
	s_cbranch_execz .LBB1_18
; %bb.13:
	s_add_co_i32 s3, s7, s6
	s_delay_alu instid0(SALU_CYCLE_1) | instskip(SKIP_4) | instid1(SALU_CYCLE_1)
	v_mul_lo_u32 v4, s3, v12
	global_load_b128 v[4:7], v4, s[0:1] scale_offset
	s_wait_loadcnt 0x0
	v_cmp_ngt_f64_e64 s0, |v[4:5]|, |v[6:7]|
	s_and_saveexec_b32 s1, s0
	s_xor_b32 s0, exec_lo, s1
	s_cbranch_execz .LBB1_15
; %bb.14:
	v_div_scale_f64 v[10:11], null, -v[6:7], -v[6:7], v[4:5]
	v_div_scale_f64 v[16:17], vcc_lo, v[4:5], -v[6:7], v[4:5]
	s_delay_alu instid0(VALU_DEP_2) | instskip(SKIP_1) | instid1(TRANS32_DEP_1)
	v_rcp_f64_e32 v[12:13], v[10:11]
	v_nop
	v_fma_f64 v[14:15], -v[10:11], v[12:13], 1.0
	s_delay_alu instid0(VALU_DEP_1) | instskip(NEXT) | instid1(VALU_DEP_1)
	v_fmac_f64_e32 v[12:13], v[12:13], v[14:15]
	v_fma_f64 v[14:15], -v[10:11], v[12:13], 1.0
	s_delay_alu instid0(VALU_DEP_1) | instskip(NEXT) | instid1(VALU_DEP_1)
	v_fmac_f64_e32 v[12:13], v[12:13], v[14:15]
	v_mul_f64_e32 v[14:15], v[16:17], v[12:13]
	s_delay_alu instid0(VALU_DEP_1) | instskip(NEXT) | instid1(VALU_DEP_1)
	v_fma_f64 v[10:11], -v[10:11], v[14:15], v[16:17]
	v_div_fmas_f64 v[10:11], v[10:11], v[12:13], v[14:15]
	s_delay_alu instid0(VALU_DEP_1) | instskip(NEXT) | instid1(VALU_DEP_1)
	v_div_fixup_f64 v[10:11], v[10:11], -v[6:7], v[4:5]
	v_fma_f64 v[4:5], v[4:5], v[10:11], -v[6:7]
	s_delay_alu instid0(VALU_DEP_1) | instskip(SKIP_1) | instid1(VALU_DEP_2)
	v_div_scale_f64 v[6:7], null, v[4:5], v[4:5], 1.0
	v_div_scale_f64 v[16:17], vcc_lo, 1.0, v[4:5], 1.0
	v_rcp_f64_e32 v[12:13], v[6:7]
	v_nop
	s_delay_alu instid0(TRANS32_DEP_1) | instskip(NEXT) | instid1(VALU_DEP_1)
	v_fma_f64 v[14:15], -v[6:7], v[12:13], 1.0
	v_fmac_f64_e32 v[12:13], v[12:13], v[14:15]
	s_delay_alu instid0(VALU_DEP_1) | instskip(NEXT) | instid1(VALU_DEP_1)
	v_fma_f64 v[14:15], -v[6:7], v[12:13], 1.0
	v_fmac_f64_e32 v[12:13], v[12:13], v[14:15]
	s_delay_alu instid0(VALU_DEP_1) | instskip(NEXT) | instid1(VALU_DEP_1)
	v_mul_f64_e32 v[14:15], v[16:17], v[12:13]
	v_fma_f64 v[6:7], -v[6:7], v[14:15], v[16:17]
	s_delay_alu instid0(VALU_DEP_1) | instskip(NEXT) | instid1(VALU_DEP_1)
	v_div_fmas_f64 v[6:7], v[6:7], v[12:13], v[14:15]
	v_div_fixup_f64 v[4:5], v[6:7], v[4:5], 1.0
	v_fma_f64 v[6:7], v[0:1], v[10:11], v[2:3]
	v_fma_f64 v[0:1], v[2:3], v[10:11], -v[0:1]
	s_delay_alu instid0(VALU_DEP_2) | instskip(NEXT) | instid1(VALU_DEP_2)
	v_mul_f64_e32 v[6:7], v[6:7], v[4:5]
	v_mul_f64_e32 v[2:3], v[0:1], v[4:5]
	s_delay_alu instid0(VALU_DEP_2)
	v_mov_b64_e32 v[0:1], v[6:7]
                                        ; implicit-def: $vgpr4_vgpr5
.LBB1_15:
	s_and_not1_saveexec_b32 s0, s0
	s_cbranch_execz .LBB1_17
; %bb.16:
	v_div_scale_f64 v[10:11], null, v[4:5], v[4:5], -v[6:7]
	v_div_scale_f64 v[16:17], vcc_lo, -v[6:7], v[4:5], -v[6:7]
	s_delay_alu instid0(VALU_DEP_2) | instskip(SKIP_1) | instid1(TRANS32_DEP_1)
	v_rcp_f64_e32 v[12:13], v[10:11]
	v_nop
	v_fma_f64 v[14:15], -v[10:11], v[12:13], 1.0
	s_delay_alu instid0(VALU_DEP_1) | instskip(NEXT) | instid1(VALU_DEP_1)
	v_fmac_f64_e32 v[12:13], v[12:13], v[14:15]
	v_fma_f64 v[14:15], -v[10:11], v[12:13], 1.0
	s_delay_alu instid0(VALU_DEP_1) | instskip(NEXT) | instid1(VALU_DEP_1)
	v_fmac_f64_e32 v[12:13], v[12:13], v[14:15]
	v_mul_f64_e32 v[14:15], v[16:17], v[12:13]
	s_delay_alu instid0(VALU_DEP_1) | instskip(NEXT) | instid1(VALU_DEP_1)
	v_fma_f64 v[10:11], -v[10:11], v[14:15], v[16:17]
	v_div_fmas_f64 v[10:11], v[10:11], v[12:13], v[14:15]
	s_delay_alu instid0(VALU_DEP_1) | instskip(NEXT) | instid1(VALU_DEP_1)
	v_div_fixup_f64 v[10:11], v[10:11], v[4:5], -v[6:7]
	v_fma_f64 v[4:5], -v[6:7], v[10:11], v[4:5]
	s_delay_alu instid0(VALU_DEP_1) | instskip(SKIP_1) | instid1(VALU_DEP_2)
	v_div_scale_f64 v[6:7], null, v[4:5], v[4:5], 1.0
	v_div_scale_f64 v[16:17], vcc_lo, 1.0, v[4:5], 1.0
	v_rcp_f64_e32 v[12:13], v[6:7]
	v_nop
	s_delay_alu instid0(TRANS32_DEP_1) | instskip(NEXT) | instid1(VALU_DEP_1)
	v_fma_f64 v[14:15], -v[6:7], v[12:13], 1.0
	v_fmac_f64_e32 v[12:13], v[12:13], v[14:15]
	s_delay_alu instid0(VALU_DEP_1) | instskip(NEXT) | instid1(VALU_DEP_1)
	v_fma_f64 v[14:15], -v[6:7], v[12:13], 1.0
	v_fmac_f64_e32 v[12:13], v[12:13], v[14:15]
	s_delay_alu instid0(VALU_DEP_1) | instskip(NEXT) | instid1(VALU_DEP_1)
	v_mul_f64_e32 v[14:15], v[16:17], v[12:13]
	v_fma_f64 v[6:7], -v[6:7], v[14:15], v[16:17]
	s_delay_alu instid0(VALU_DEP_1) | instskip(NEXT) | instid1(VALU_DEP_1)
	v_div_fmas_f64 v[6:7], v[6:7], v[12:13], v[14:15]
	v_div_fixup_f64 v[4:5], v[6:7], v[4:5], 1.0
	v_fma_f64 v[6:7], v[2:3], v[10:11], v[0:1]
	v_fma_f64 v[0:1], -v[0:1], v[10:11], v[2:3]
	s_delay_alu instid0(VALU_DEP_2) | instskip(NEXT) | instid1(VALU_DEP_2)
	v_mul_f64_e32 v[6:7], v[6:7], v[4:5]
	v_mul_f64_e32 v[2:3], v[0:1], v[4:5]
	s_delay_alu instid0(VALU_DEP_2)
	v_mov_b64_e32 v[0:1], v[6:7]
.LBB1_17:
	s_or_b32 exec_lo, exec_lo, s0
.LBB1_18:
	s_delay_alu instid0(SALU_CYCLE_1)
	s_or_b32 exec_lo, exec_lo, s2
	s_wait_loadcnt 0x0
	global_store_b128 v[8:9], v[0:3], off
.LBB1_19:
	s_endpgm
	.section	.rodata,"a",@progbits
	.p2align	6, 0x0
	.amdhsa_kernel _ZN9rocsolver6v33100L40conj_nonunit_forward_substitution_kernelI19rocblas_complex_numIdEiPS3_EEvT0_S5_T1_S5_S5_llS6_S5_S5_ll
		.amdhsa_group_segment_fixed_size 0
		.amdhsa_private_segment_fixed_size 0
		.amdhsa_kernarg_size 328
		.amdhsa_user_sgpr_count 2
		.amdhsa_user_sgpr_dispatch_ptr 0
		.amdhsa_user_sgpr_queue_ptr 0
		.amdhsa_user_sgpr_kernarg_segment_ptr 1
		.amdhsa_user_sgpr_dispatch_id 0
		.amdhsa_user_sgpr_kernarg_preload_length 0
		.amdhsa_user_sgpr_kernarg_preload_offset 0
		.amdhsa_user_sgpr_private_segment_size 0
		.amdhsa_wavefront_size32 1
		.amdhsa_uses_dynamic_stack 0
		.amdhsa_enable_private_segment 0
		.amdhsa_system_sgpr_workgroup_id_x 1
		.amdhsa_system_sgpr_workgroup_id_y 1
		.amdhsa_system_sgpr_workgroup_id_z 1
		.amdhsa_system_sgpr_workgroup_info 0
		.amdhsa_system_vgpr_workitem_id 1
		.amdhsa_next_free_vgpr 24
		.amdhsa_next_free_sgpr 16
		.amdhsa_named_barrier_count 0
		.amdhsa_reserve_vcc 1
		.amdhsa_float_round_mode_32 0
		.amdhsa_float_round_mode_16_64 0
		.amdhsa_float_denorm_mode_32 3
		.amdhsa_float_denorm_mode_16_64 3
		.amdhsa_fp16_overflow 0
		.amdhsa_memory_ordered 1
		.amdhsa_forward_progress 1
		.amdhsa_inst_pref_size 13
		.amdhsa_round_robin_scheduling 0
		.amdhsa_exception_fp_ieee_invalid_op 0
		.amdhsa_exception_fp_denorm_src 0
		.amdhsa_exception_fp_ieee_div_zero 0
		.amdhsa_exception_fp_ieee_overflow 0
		.amdhsa_exception_fp_ieee_underflow 0
		.amdhsa_exception_fp_ieee_inexact 0
		.amdhsa_exception_int_div_zero 0
	.end_amdhsa_kernel
	.section	.text._ZN9rocsolver6v33100L40conj_nonunit_forward_substitution_kernelI19rocblas_complex_numIdEiPS3_EEvT0_S5_T1_S5_S5_llS6_S5_S5_ll,"axG",@progbits,_ZN9rocsolver6v33100L40conj_nonunit_forward_substitution_kernelI19rocblas_complex_numIdEiPS3_EEvT0_S5_T1_S5_S5_llS6_S5_S5_ll,comdat
.Lfunc_end1:
	.size	_ZN9rocsolver6v33100L40conj_nonunit_forward_substitution_kernelI19rocblas_complex_numIdEiPS3_EEvT0_S5_T1_S5_S5_llS6_S5_S5_ll, .Lfunc_end1-_ZN9rocsolver6v33100L40conj_nonunit_forward_substitution_kernelI19rocblas_complex_numIdEiPS3_EEvT0_S5_T1_S5_S5_llS6_S5_S5_ll
                                        ; -- End function
	.set _ZN9rocsolver6v33100L40conj_nonunit_forward_substitution_kernelI19rocblas_complex_numIdEiPS3_EEvT0_S5_T1_S5_S5_llS6_S5_S5_ll.num_vgpr, 24
	.set _ZN9rocsolver6v33100L40conj_nonunit_forward_substitution_kernelI19rocblas_complex_numIdEiPS3_EEvT0_S5_T1_S5_S5_llS6_S5_S5_ll.num_agpr, 0
	.set _ZN9rocsolver6v33100L40conj_nonunit_forward_substitution_kernelI19rocblas_complex_numIdEiPS3_EEvT0_S5_T1_S5_S5_llS6_S5_S5_ll.numbered_sgpr, 16
	.set _ZN9rocsolver6v33100L40conj_nonunit_forward_substitution_kernelI19rocblas_complex_numIdEiPS3_EEvT0_S5_T1_S5_S5_llS6_S5_S5_ll.num_named_barrier, 0
	.set _ZN9rocsolver6v33100L40conj_nonunit_forward_substitution_kernelI19rocblas_complex_numIdEiPS3_EEvT0_S5_T1_S5_S5_llS6_S5_S5_ll.private_seg_size, 0
	.set _ZN9rocsolver6v33100L40conj_nonunit_forward_substitution_kernelI19rocblas_complex_numIdEiPS3_EEvT0_S5_T1_S5_S5_llS6_S5_S5_ll.uses_vcc, 1
	.set _ZN9rocsolver6v33100L40conj_nonunit_forward_substitution_kernelI19rocblas_complex_numIdEiPS3_EEvT0_S5_T1_S5_S5_llS6_S5_S5_ll.uses_flat_scratch, 0
	.set _ZN9rocsolver6v33100L40conj_nonunit_forward_substitution_kernelI19rocblas_complex_numIdEiPS3_EEvT0_S5_T1_S5_S5_llS6_S5_S5_ll.has_dyn_sized_stack, 0
	.set _ZN9rocsolver6v33100L40conj_nonunit_forward_substitution_kernelI19rocblas_complex_numIdEiPS3_EEvT0_S5_T1_S5_S5_llS6_S5_S5_ll.has_recursion, 0
	.set _ZN9rocsolver6v33100L40conj_nonunit_forward_substitution_kernelI19rocblas_complex_numIdEiPS3_EEvT0_S5_T1_S5_S5_llS6_S5_S5_ll.has_indirect_call, 0
	.section	.AMDGPU.csdata,"",@progbits
; Kernel info:
; codeLenInByte = 1628
; TotalNumSgprs: 18
; NumVgprs: 24
; ScratchSize: 0
; MemoryBound: 0
; FloatMode: 240
; IeeeMode: 1
; LDSByteSize: 0 bytes/workgroup (compile time only)
; SGPRBlocks: 0
; VGPRBlocks: 1
; NumSGPRsForWavesPerEU: 18
; NumVGPRsForWavesPerEU: 24
; NamedBarCnt: 0
; Occupancy: 16
; WaveLimiterHint : 0
; COMPUTE_PGM_RSRC2:SCRATCH_EN: 0
; COMPUTE_PGM_RSRC2:USER_SGPR: 2
; COMPUTE_PGM_RSRC2:TRAP_HANDLER: 0
; COMPUTE_PGM_RSRC2:TGID_X_EN: 1
; COMPUTE_PGM_RSRC2:TGID_Y_EN: 1
; COMPUTE_PGM_RSRC2:TGID_Z_EN: 1
; COMPUTE_PGM_RSRC2:TIDIG_COMP_CNT: 1
	.section	.text._ZN9rocsolver6v33100L32unit_forward_substitution_kernelI19rocblas_complex_numIdEiPS3_EEvT0_S5_T1_S5_S5_llS6_S5_S5_ll,"axG",@progbits,_ZN9rocsolver6v33100L32unit_forward_substitution_kernelI19rocblas_complex_numIdEiPS3_EEvT0_S5_T1_S5_S5_llS6_S5_S5_ll,comdat
	.globl	_ZN9rocsolver6v33100L32unit_forward_substitution_kernelI19rocblas_complex_numIdEiPS3_EEvT0_S5_T1_S5_S5_llS6_S5_S5_ll ; -- Begin function _ZN9rocsolver6v33100L32unit_forward_substitution_kernelI19rocblas_complex_numIdEiPS3_EEvT0_S5_T1_S5_S5_llS6_S5_S5_ll
	.p2align	8
	.type	_ZN9rocsolver6v33100L32unit_forward_substitution_kernelI19rocblas_complex_numIdEiPS3_EEvT0_S5_T1_S5_S5_llS6_S5_S5_ll,@function
_ZN9rocsolver6v33100L32unit_forward_substitution_kernelI19rocblas_complex_numIdEiPS3_EEvT0_S5_T1_S5_S5_llS6_S5_S5_ll: ; @_ZN9rocsolver6v33100L32unit_forward_substitution_kernelI19rocblas_complex_numIdEiPS3_EEvT0_S5_T1_S5_S5_llS6_S5_S5_ll
; %bb.0:
	s_clause 0x1
	s_load_u16 s3, s[0:1], 0x56
	s_load_b64 s[12:13], s[0:1], 0x0
	s_bfe_u32 s2, ttmp6, 0x40010
	s_and_b32 s4, ttmp7, 0xffff
	s_add_co_i32 s2, s2, 1
	s_bfe_u32 s6, ttmp6, 0x40004
	s_mul_i32 s5, s4, s2
	s_getreg_b32 s2, hwreg(HW_REG_IB_STS2, 6, 4)
	v_bfe_u32 v6, v0, 10, 10
	s_add_co_i32 s6, s6, s5
	s_cmp_eq_u32 s2, 0
	s_mov_b32 s15, 0
	s_cselect_b32 s4, s4, s6
	s_wait_kmcnt 0x0
	v_mad_u32 v1, s4, s3, v6
	s_mov_b32 s3, exec_lo
	s_delay_alu instid0(VALU_DEP_1)
	v_cmpx_gt_i32_e64 s13, v1
	s_cbranch_execz .LBB2_9
; %bb.1:
	s_load_b256 s[4:11], s[0:1], 0x28
	v_and_b32_e32 v10, 0x3ff, v0
	s_bfe_u32 s3, ttmp6, 0x40014
	s_bfe_u32 s13, ttmp6, 0x40008
	s_add_co_i32 s3, s3, 1
	s_wait_kmcnt 0x0
	v_mul_lo_u32 v0, s6, v10
	s_lshr_b32 s6, ttmp7, 16
	s_delay_alu instid0(SALU_CYCLE_1) | instskip(NEXT) | instid1(SALU_CYCLE_1)
	s_mul_i32 s3, s6, s3
	s_add_co_i32 s13, s13, s3
	s_cmp_eq_u32 s2, 0
	s_cselect_b32 s14, s6, s13
	s_delay_alu instid0(SALU_CYCLE_1) | instskip(NEXT) | instid1(VALU_DEP_1)
	s_mul_u64 s[2:3], s[10:11], s[14:15]
	v_mad_u32 v4, v1, s7, v0
	s_lshl_b64 s[2:3], s[2:3], 4
	s_delay_alu instid0(SALU_CYCLE_1)
	s_add_nc_u64 s[2:3], s[4:5], s[2:3]
	s_lshl_b64 s[4:5], s[8:9], 4
	s_cmp_lt_i32 s12, 2
	s_add_nc_u64 s[2:3], s[2:3], s[4:5]
	global_load_b128 v[0:3], v4, s[2:3] scale_offset
	v_ashrrev_i32_e32 v5, 31, v4
	s_cbranch_scc1 .LBB2_8
; %bb.2:
	s_load_b256 s[4:11], s[0:1], 0x8
	v_lshl_add_u32 v12, v6, 4, 0
	s_wait_kmcnt 0x0
	v_mul_lo_u32 v11, s6, v10
	s_mul_u64 s[0:1], s[10:11], s[14:15]
	s_delay_alu instid0(SALU_CYCLE_1) | instskip(NEXT) | instid1(SALU_CYCLE_1)
	s_lshl_b64 s[0:1], s[0:1], 4
	s_add_nc_u64 s[0:1], s[4:5], s[0:1]
	s_lshl_b64 s[4:5], s[8:9], 4
	s_delay_alu instid0(SALU_CYCLE_1)
	s_add_nc_u64 s[0:1], s[0:1], s[4:5]
	s_mov_b32 s4, 0
	s_add_co_i32 s5, s12, -1
	s_branch .LBB2_4
.LBB2_3:                                ;   in Loop: Header=BB2_4 Depth=1
	s_or_b32 exec_lo, exec_lo, s6
	s_delay_alu instid0(VALU_DEP_2) | instskip(NEXT) | instid1(VALU_DEP_2)
	v_dual_add_f64 v[0:1], v[0:1], -v[8:9] :: v_dual_add_nc_u32 v11, s7, v11
	v_add_f64_e64 v[2:3], v[2:3], -v[6:7]
	s_add_co_i32 s4, s4, 1
	s_delay_alu instid0(SALU_CYCLE_1)
	s_cmp_eq_u32 s5, s4
	s_cbranch_scc1 .LBB2_8
.LBB2_4:                                ; =>This Inner Loop Header: Depth=1
	s_mov_b32 s6, exec_lo
	s_wait_loadcnt 0x0
	s_barrier_signal -1
	s_barrier_wait -1
	v_cmpx_eq_u32_e64 s4, v10
; %bb.5:                                ;   in Loop: Header=BB2_4 Depth=1
	ds_store_2addr_b64 v12, v[0:1], v[2:3] offset1:1
; %bb.6:                                ;   in Loop: Header=BB2_4 Depth=1
	s_or_b32 exec_lo, exec_lo, s6
	v_mov_b64_e32 v[6:7], 0
	v_mov_b64_e32 v[8:9], 0
	s_mov_b32 s6, exec_lo
	s_wait_dscnt 0x0
	s_barrier_signal -1
	s_barrier_wait -1
	v_cmpx_lt_u32_e64 s4, v10
	s_cbranch_execz .LBB2_3
; %bb.7:                                ;   in Loop: Header=BB2_4 Depth=1
	global_load_b128 v[14:17], v11, s[0:1] scale_offset
	ds_load_2addr_b64 v[18:21], v12 offset1:1
	s_wait_loadcnt_dscnt 0x0
	v_mul_f64_e32 v[8:9], v[20:21], v[16:17]
	v_mul_f64_e32 v[6:7], v[18:19], v[16:17]
	s_delay_alu instid0(VALU_DEP_2) | instskip(NEXT) | instid1(VALU_DEP_2)
	v_fma_f64 v[8:9], v[18:19], v[14:15], -v[8:9]
	v_fmac_f64_e32 v[6:7], v[20:21], v[14:15]
	s_branch .LBB2_3
.LBB2_8:
	s_wait_xcnt 0x0
	s_delay_alu instid0(VALU_DEP_1)
	v_lshl_add_u64 v[4:5], v[4:5], 4, s[2:3]
	s_wait_loadcnt 0x0
	global_store_b128 v[4:5], v[0:3], off
.LBB2_9:
	s_endpgm
	.section	.rodata,"a",@progbits
	.p2align	6, 0x0
	.amdhsa_kernel _ZN9rocsolver6v33100L32unit_forward_substitution_kernelI19rocblas_complex_numIdEiPS3_EEvT0_S5_T1_S5_S5_llS6_S5_S5_ll
		.amdhsa_group_segment_fixed_size 0
		.amdhsa_private_segment_fixed_size 0
		.amdhsa_kernarg_size 328
		.amdhsa_user_sgpr_count 2
		.amdhsa_user_sgpr_dispatch_ptr 0
		.amdhsa_user_sgpr_queue_ptr 0
		.amdhsa_user_sgpr_kernarg_segment_ptr 1
		.amdhsa_user_sgpr_dispatch_id 0
		.amdhsa_user_sgpr_kernarg_preload_length 0
		.amdhsa_user_sgpr_kernarg_preload_offset 0
		.amdhsa_user_sgpr_private_segment_size 0
		.amdhsa_wavefront_size32 1
		.amdhsa_uses_dynamic_stack 0
		.amdhsa_enable_private_segment 0
		.amdhsa_system_sgpr_workgroup_id_x 1
		.amdhsa_system_sgpr_workgroup_id_y 1
		.amdhsa_system_sgpr_workgroup_id_z 1
		.amdhsa_system_sgpr_workgroup_info 0
		.amdhsa_system_vgpr_workitem_id 1
		.amdhsa_next_free_vgpr 22
		.amdhsa_next_free_sgpr 16
		.amdhsa_named_barrier_count 0
		.amdhsa_reserve_vcc 0
		.amdhsa_float_round_mode_32 0
		.amdhsa_float_round_mode_16_64 0
		.amdhsa_float_denorm_mode_32 3
		.amdhsa_float_denorm_mode_16_64 3
		.amdhsa_fp16_overflow 0
		.amdhsa_memory_ordered 1
		.amdhsa_forward_progress 1
		.amdhsa_inst_pref_size 5
		.amdhsa_round_robin_scheduling 0
		.amdhsa_exception_fp_ieee_invalid_op 0
		.amdhsa_exception_fp_denorm_src 0
		.amdhsa_exception_fp_ieee_div_zero 0
		.amdhsa_exception_fp_ieee_overflow 0
		.amdhsa_exception_fp_ieee_underflow 0
		.amdhsa_exception_fp_ieee_inexact 0
		.amdhsa_exception_int_div_zero 0
	.end_amdhsa_kernel
	.section	.text._ZN9rocsolver6v33100L32unit_forward_substitution_kernelI19rocblas_complex_numIdEiPS3_EEvT0_S5_T1_S5_S5_llS6_S5_S5_ll,"axG",@progbits,_ZN9rocsolver6v33100L32unit_forward_substitution_kernelI19rocblas_complex_numIdEiPS3_EEvT0_S5_T1_S5_S5_llS6_S5_S5_ll,comdat
.Lfunc_end2:
	.size	_ZN9rocsolver6v33100L32unit_forward_substitution_kernelI19rocblas_complex_numIdEiPS3_EEvT0_S5_T1_S5_S5_llS6_S5_S5_ll, .Lfunc_end2-_ZN9rocsolver6v33100L32unit_forward_substitution_kernelI19rocblas_complex_numIdEiPS3_EEvT0_S5_T1_S5_S5_llS6_S5_S5_ll
                                        ; -- End function
	.set _ZN9rocsolver6v33100L32unit_forward_substitution_kernelI19rocblas_complex_numIdEiPS3_EEvT0_S5_T1_S5_S5_llS6_S5_S5_ll.num_vgpr, 22
	.set _ZN9rocsolver6v33100L32unit_forward_substitution_kernelI19rocblas_complex_numIdEiPS3_EEvT0_S5_T1_S5_S5_llS6_S5_S5_ll.num_agpr, 0
	.set _ZN9rocsolver6v33100L32unit_forward_substitution_kernelI19rocblas_complex_numIdEiPS3_EEvT0_S5_T1_S5_S5_llS6_S5_S5_ll.numbered_sgpr, 16
	.set _ZN9rocsolver6v33100L32unit_forward_substitution_kernelI19rocblas_complex_numIdEiPS3_EEvT0_S5_T1_S5_S5_llS6_S5_S5_ll.num_named_barrier, 0
	.set _ZN9rocsolver6v33100L32unit_forward_substitution_kernelI19rocblas_complex_numIdEiPS3_EEvT0_S5_T1_S5_S5_llS6_S5_S5_ll.private_seg_size, 0
	.set _ZN9rocsolver6v33100L32unit_forward_substitution_kernelI19rocblas_complex_numIdEiPS3_EEvT0_S5_T1_S5_S5_llS6_S5_S5_ll.uses_vcc, 0
	.set _ZN9rocsolver6v33100L32unit_forward_substitution_kernelI19rocblas_complex_numIdEiPS3_EEvT0_S5_T1_S5_S5_llS6_S5_S5_ll.uses_flat_scratch, 0
	.set _ZN9rocsolver6v33100L32unit_forward_substitution_kernelI19rocblas_complex_numIdEiPS3_EEvT0_S5_T1_S5_S5_llS6_S5_S5_ll.has_dyn_sized_stack, 0
	.set _ZN9rocsolver6v33100L32unit_forward_substitution_kernelI19rocblas_complex_numIdEiPS3_EEvT0_S5_T1_S5_S5_llS6_S5_S5_ll.has_recursion, 0
	.set _ZN9rocsolver6v33100L32unit_forward_substitution_kernelI19rocblas_complex_numIdEiPS3_EEvT0_S5_T1_S5_S5_llS6_S5_S5_ll.has_indirect_call, 0
	.section	.AMDGPU.csdata,"",@progbits
; Kernel info:
; codeLenInByte = 516
; TotalNumSgprs: 16
; NumVgprs: 22
; ScratchSize: 0
; MemoryBound: 0
; FloatMode: 240
; IeeeMode: 1
; LDSByteSize: 0 bytes/workgroup (compile time only)
; SGPRBlocks: 0
; VGPRBlocks: 1
; NumSGPRsForWavesPerEU: 16
; NumVGPRsForWavesPerEU: 22
; NamedBarCnt: 0
; Occupancy: 16
; WaveLimiterHint : 0
; COMPUTE_PGM_RSRC2:SCRATCH_EN: 0
; COMPUTE_PGM_RSRC2:USER_SGPR: 2
; COMPUTE_PGM_RSRC2:TRAP_HANDLER: 0
; COMPUTE_PGM_RSRC2:TGID_X_EN: 1
; COMPUTE_PGM_RSRC2:TGID_Y_EN: 1
; COMPUTE_PGM_RSRC2:TGID_Z_EN: 1
; COMPUTE_PGM_RSRC2:TIDIG_COMP_CNT: 1
	.section	.text._ZN9rocsolver6v33100L35nonunit_forward_substitution_kernelI19rocblas_complex_numIdEiPS3_EEvT0_S5_T1_S5_S5_llS6_S5_S5_ll,"axG",@progbits,_ZN9rocsolver6v33100L35nonunit_forward_substitution_kernelI19rocblas_complex_numIdEiPS3_EEvT0_S5_T1_S5_S5_llS6_S5_S5_ll,comdat
	.globl	_ZN9rocsolver6v33100L35nonunit_forward_substitution_kernelI19rocblas_complex_numIdEiPS3_EEvT0_S5_T1_S5_S5_llS6_S5_S5_ll ; -- Begin function _ZN9rocsolver6v33100L35nonunit_forward_substitution_kernelI19rocblas_complex_numIdEiPS3_EEvT0_S5_T1_S5_S5_llS6_S5_S5_ll
	.p2align	8
	.type	_ZN9rocsolver6v33100L35nonunit_forward_substitution_kernelI19rocblas_complex_numIdEiPS3_EEvT0_S5_T1_S5_S5_llS6_S5_S5_ll,@function
_ZN9rocsolver6v33100L35nonunit_forward_substitution_kernelI19rocblas_complex_numIdEiPS3_EEvT0_S5_T1_S5_S5_llS6_S5_S5_ll: ; @_ZN9rocsolver6v33100L35nonunit_forward_substitution_kernelI19rocblas_complex_numIdEiPS3_EEvT0_S5_T1_S5_S5_llS6_S5_S5_ll
; %bb.0:
	s_clause 0x1
	s_load_u16 s3, s[0:1], 0x56
	s_load_b64 s[12:13], s[0:1], 0x0
	s_bfe_u32 s2, ttmp6, 0x40010
	s_and_b32 s4, ttmp7, 0xffff
	s_add_co_i32 s2, s2, 1
	s_bfe_u32 s6, ttmp6, 0x40004
	s_mul_i32 s5, s4, s2
	s_getreg_b32 s2, hwreg(HW_REG_IB_STS2, 6, 4)
	v_bfe_u32 v4, v0, 10, 10
	s_add_co_i32 s6, s6, s5
	s_cmp_eq_u32 s2, 0
	s_mov_b32 s15, 0
	s_cselect_b32 s4, s4, s6
	s_wait_kmcnt 0x0
	v_mad_u32 v1, s4, s3, v4
	s_mov_b32 s3, exec_lo
	s_delay_alu instid0(VALU_DEP_1)
	v_cmpx_gt_i32_e64 s13, v1
	s_cbranch_execz .LBB3_19
; %bb.1:
	s_load_b256 s[4:11], s[0:1], 0x28
	v_and_b32_e32 v12, 0x3ff, v0
	s_bfe_u32 s3, ttmp6, 0x40014
	s_bfe_u32 s13, ttmp6, 0x40008
	s_add_co_i32 s3, s3, 1
	s_wait_kmcnt 0x0
	v_mul_lo_u32 v0, s6, v12
	s_lshr_b32 s6, ttmp7, 16
	s_delay_alu instid0(SALU_CYCLE_1) | instskip(NEXT) | instid1(SALU_CYCLE_1)
	s_mul_i32 s3, s6, s3
	s_add_co_i32 s13, s13, s3
	s_cmp_eq_u32 s2, 0
	s_cselect_b32 s14, s6, s13
	s_delay_alu instid0(SALU_CYCLE_1) | instskip(NEXT) | instid1(VALU_DEP_1)
	s_mul_u64 s[2:3], s[10:11], s[14:15]
	v_mad_u32 v8, v1, s7, v0
	s_lshl_b64 s[2:3], s[2:3], 4
	s_delay_alu instid0(SALU_CYCLE_1) | instskip(SKIP_1) | instid1(SALU_CYCLE_1)
	s_add_nc_u64 s[2:3], s[4:5], s[2:3]
	s_lshl_b64 s[4:5], s[8:9], 4
	s_add_nc_u64 s[2:3], s[2:3], s[4:5]
	s_load_b256 s[4:11], s[0:1], 0x8
	global_load_b128 v[0:3], v8, s[2:3] scale_offset
	v_ashrrev_i32_e32 v9, 31, v8
	s_wait_kmcnt 0x0
	s_mul_u64 s[0:1], s[10:11], s[14:15]
	s_lshl_b64 s[8:9], s[8:9], 4
	s_lshl_b64 s[0:1], s[0:1], 4
	s_delay_alu instid0(SALU_CYCLE_1)
	s_add_nc_u64 s[0:1], s[4:5], s[0:1]
	s_add_co_i32 s4, s12, -1
	s_cmp_lt_i32 s12, 2
	s_add_nc_u64 s[0:1], s[0:1], s[8:9]
	s_cbranch_scc1 .LBB3_12
; %bb.2:
	s_add_co_i32 s5, s7, s6
	v_mul_lo_u32 v13, s6, v12
	v_mul_lo_u32 v6, s5, v12
	v_lshl_add_u32 v14, v4, 4, 0
	s_mov_b32 s5, 0
	s_delay_alu instid0(VALU_DEP_2) | instskip(NEXT) | instid1(VALU_DEP_1)
	v_ashrrev_i32_e32 v7, 31, v6
	v_lshl_add_u64 v[10:11], v[6:7], 4, s[0:1]
	s_branch .LBB3_4
.LBB3_3:                                ;   in Loop: Header=BB3_4 Depth=1
	s_or_b32 exec_lo, exec_lo, s8
	s_delay_alu instid0(VALU_DEP_2) | instskip(NEXT) | instid1(VALU_DEP_2)
	v_dual_add_f64 v[0:1], v[0:1], -v[6:7] :: v_dual_add_nc_u32 v13, s7, v13
	v_add_f64_e64 v[2:3], v[2:3], -v[4:5]
	s_add_co_i32 s5, s5, 1
	s_delay_alu instid0(SALU_CYCLE_1)
	s_cmp_eq_u32 s4, s5
	s_cbranch_scc1 .LBB3_12
.LBB3_4:                                ; =>This Inner Loop Header: Depth=1
	s_mov_b32 s8, exec_lo
	s_wait_loadcnt 0x0
	s_barrier_signal -1
	s_barrier_wait -1
	s_wait_xcnt 0x0
	v_cmpx_eq_u32_e64 s5, v12
	s_cbranch_execz .LBB3_10
; %bb.5:                                ;   in Loop: Header=BB3_4 Depth=1
	global_load_b128 v[4:7], v[10:11], off
	s_wait_loadcnt 0x0
	v_cmp_ngt_f64_e64 s9, |v[4:5]|, |v[6:7]|
	s_and_saveexec_b32 s10, s9
	s_delay_alu instid0(SALU_CYCLE_1)
	s_xor_b32 s9, exec_lo, s10
	s_cbranch_execz .LBB3_7
; %bb.6:                                ;   in Loop: Header=BB3_4 Depth=1
	v_div_scale_f64 v[16:17], null, v[6:7], v[6:7], v[4:5]
	v_div_scale_f64 v[22:23], vcc_lo, v[4:5], v[6:7], v[4:5]
	s_delay_alu instid0(VALU_DEP_2) | instskip(SKIP_1) | instid1(TRANS32_DEP_1)
	v_rcp_f64_e32 v[18:19], v[16:17]
	v_nop
	v_fma_f64 v[20:21], -v[16:17], v[18:19], 1.0
	s_delay_alu instid0(VALU_DEP_1) | instskip(NEXT) | instid1(VALU_DEP_1)
	v_fmac_f64_e32 v[18:19], v[18:19], v[20:21]
	v_fma_f64 v[20:21], -v[16:17], v[18:19], 1.0
	s_delay_alu instid0(VALU_DEP_1) | instskip(NEXT) | instid1(VALU_DEP_1)
	v_fmac_f64_e32 v[18:19], v[18:19], v[20:21]
	v_mul_f64_e32 v[20:21], v[22:23], v[18:19]
	s_delay_alu instid0(VALU_DEP_1) | instskip(NEXT) | instid1(VALU_DEP_1)
	v_fma_f64 v[16:17], -v[16:17], v[20:21], v[22:23]
	v_div_fmas_f64 v[16:17], v[16:17], v[18:19], v[20:21]
	s_delay_alu instid0(VALU_DEP_1) | instskip(NEXT) | instid1(VALU_DEP_1)
	v_div_fixup_f64 v[16:17], v[16:17], v[6:7], v[4:5]
	v_fmac_f64_e32 v[6:7], v[4:5], v[16:17]
	s_delay_alu instid0(VALU_DEP_1) | instskip(SKIP_1) | instid1(VALU_DEP_2)
	v_div_scale_f64 v[4:5], null, v[6:7], v[6:7], 1.0
	v_div_scale_f64 v[22:23], vcc_lo, 1.0, v[6:7], 1.0
	v_rcp_f64_e32 v[18:19], v[4:5]
	v_nop
	s_delay_alu instid0(TRANS32_DEP_1) | instskip(NEXT) | instid1(VALU_DEP_1)
	v_fma_f64 v[20:21], -v[4:5], v[18:19], 1.0
	v_fmac_f64_e32 v[18:19], v[18:19], v[20:21]
	s_delay_alu instid0(VALU_DEP_1) | instskip(NEXT) | instid1(VALU_DEP_1)
	v_fma_f64 v[20:21], -v[4:5], v[18:19], 1.0
	v_fmac_f64_e32 v[18:19], v[18:19], v[20:21]
	s_delay_alu instid0(VALU_DEP_1) | instskip(NEXT) | instid1(VALU_DEP_1)
	v_mul_f64_e32 v[20:21], v[22:23], v[18:19]
	v_fma_f64 v[4:5], -v[4:5], v[20:21], v[22:23]
	s_delay_alu instid0(VALU_DEP_1) | instskip(NEXT) | instid1(VALU_DEP_1)
	v_div_fmas_f64 v[4:5], v[4:5], v[18:19], v[20:21]
	v_div_fixup_f64 v[4:5], v[4:5], v[6:7], 1.0
	v_fma_f64 v[6:7], v[0:1], v[16:17], v[2:3]
	v_fma_f64 v[0:1], v[2:3], v[16:17], -v[0:1]
	s_delay_alu instid0(VALU_DEP_2) | instskip(NEXT) | instid1(VALU_DEP_2)
	v_mul_f64_e32 v[6:7], v[6:7], v[4:5]
	v_mul_f64_e32 v[2:3], v[0:1], v[4:5]
	s_delay_alu instid0(VALU_DEP_2)
	v_mov_b64_e32 v[0:1], v[6:7]
                                        ; implicit-def: $vgpr4_vgpr5
.LBB3_7:                                ;   in Loop: Header=BB3_4 Depth=1
	s_and_not1_saveexec_b32 s9, s9
	s_cbranch_execz .LBB3_9
; %bb.8:                                ;   in Loop: Header=BB3_4 Depth=1
	v_div_scale_f64 v[16:17], null, v[4:5], v[4:5], v[6:7]
	v_div_scale_f64 v[22:23], vcc_lo, v[6:7], v[4:5], v[6:7]
	s_delay_alu instid0(VALU_DEP_2) | instskip(SKIP_1) | instid1(TRANS32_DEP_1)
	v_rcp_f64_e32 v[18:19], v[16:17]
	v_nop
	v_fma_f64 v[20:21], -v[16:17], v[18:19], 1.0
	s_delay_alu instid0(VALU_DEP_1) | instskip(NEXT) | instid1(VALU_DEP_1)
	v_fmac_f64_e32 v[18:19], v[18:19], v[20:21]
	v_fma_f64 v[20:21], -v[16:17], v[18:19], 1.0
	s_delay_alu instid0(VALU_DEP_1) | instskip(NEXT) | instid1(VALU_DEP_1)
	v_fmac_f64_e32 v[18:19], v[18:19], v[20:21]
	v_mul_f64_e32 v[20:21], v[22:23], v[18:19]
	s_delay_alu instid0(VALU_DEP_1) | instskip(NEXT) | instid1(VALU_DEP_1)
	v_fma_f64 v[16:17], -v[16:17], v[20:21], v[22:23]
	v_div_fmas_f64 v[16:17], v[16:17], v[18:19], v[20:21]
	s_delay_alu instid0(VALU_DEP_1) | instskip(NEXT) | instid1(VALU_DEP_1)
	v_div_fixup_f64 v[16:17], v[16:17], v[4:5], v[6:7]
	v_fmac_f64_e32 v[4:5], v[6:7], v[16:17]
	s_delay_alu instid0(VALU_DEP_1) | instskip(SKIP_1) | instid1(VALU_DEP_2)
	v_div_scale_f64 v[6:7], null, v[4:5], v[4:5], 1.0
	v_div_scale_f64 v[22:23], vcc_lo, 1.0, v[4:5], 1.0
	v_rcp_f64_e32 v[18:19], v[6:7]
	v_nop
	s_delay_alu instid0(TRANS32_DEP_1) | instskip(NEXT) | instid1(VALU_DEP_1)
	v_fma_f64 v[20:21], -v[6:7], v[18:19], 1.0
	v_fmac_f64_e32 v[18:19], v[18:19], v[20:21]
	s_delay_alu instid0(VALU_DEP_1) | instskip(NEXT) | instid1(VALU_DEP_1)
	v_fma_f64 v[20:21], -v[6:7], v[18:19], 1.0
	v_fmac_f64_e32 v[18:19], v[18:19], v[20:21]
	s_delay_alu instid0(VALU_DEP_1) | instskip(NEXT) | instid1(VALU_DEP_1)
	v_mul_f64_e32 v[20:21], v[22:23], v[18:19]
	v_fma_f64 v[6:7], -v[6:7], v[20:21], v[22:23]
	s_delay_alu instid0(VALU_DEP_1) | instskip(NEXT) | instid1(VALU_DEP_1)
	v_div_fmas_f64 v[6:7], v[6:7], v[18:19], v[20:21]
	v_div_fixup_f64 v[4:5], v[6:7], v[4:5], 1.0
	v_fma_f64 v[6:7], v[2:3], v[16:17], v[0:1]
	v_fma_f64 v[0:1], -v[0:1], v[16:17], v[2:3]
	s_delay_alu instid0(VALU_DEP_2) | instskip(NEXT) | instid1(VALU_DEP_2)
	v_mul_f64_e32 v[6:7], v[6:7], v[4:5]
	v_mul_f64_e32 v[2:3], v[0:1], v[4:5]
	s_delay_alu instid0(VALU_DEP_2)
	v_mov_b64_e32 v[0:1], v[6:7]
.LBB3_9:                                ;   in Loop: Header=BB3_4 Depth=1
	s_or_b32 exec_lo, exec_lo, s9
	ds_store_2addr_b64 v14, v[0:1], v[2:3] offset1:1
.LBB3_10:                               ;   in Loop: Header=BB3_4 Depth=1
	s_or_b32 exec_lo, exec_lo, s8
	v_mov_b64_e32 v[4:5], 0
	v_mov_b64_e32 v[6:7], 0
	s_mov_b32 s8, exec_lo
	s_wait_dscnt 0x0
	s_barrier_signal -1
	s_barrier_wait -1
	v_cmpx_lt_u32_e64 s5, v12
	s_cbranch_execz .LBB3_3
; %bb.11:                               ;   in Loop: Header=BB3_4 Depth=1
	global_load_b128 v[16:19], v13, s[0:1] scale_offset
	ds_load_2addr_b64 v[20:23], v14 offset1:1
	s_wait_loadcnt_dscnt 0x0
	v_mul_f64_e32 v[6:7], v[22:23], v[18:19]
	v_mul_f64_e32 v[4:5], v[20:21], v[18:19]
	s_delay_alu instid0(VALU_DEP_2) | instskip(NEXT) | instid1(VALU_DEP_2)
	v_fma_f64 v[6:7], v[20:21], v[16:17], -v[6:7]
	v_fmac_f64_e32 v[4:5], v[22:23], v[16:17]
	s_branch .LBB3_3
.LBB3_12:
	s_wait_xcnt 0x0
	v_lshl_add_u64 v[8:9], v[8:9], 4, s[2:3]
	s_mov_b32 s2, exec_lo
	v_cmpx_eq_u32_e64 s4, v12
	s_cbranch_execz .LBB3_18
; %bb.13:
	s_add_co_i32 s3, s7, s6
	s_delay_alu instid0(SALU_CYCLE_1) | instskip(SKIP_4) | instid1(SALU_CYCLE_1)
	v_mul_lo_u32 v4, s3, v12
	global_load_b128 v[4:7], v4, s[0:1] scale_offset
	s_wait_loadcnt 0x0
	v_cmp_ngt_f64_e64 s0, |v[4:5]|, |v[6:7]|
	s_and_saveexec_b32 s1, s0
	s_xor_b32 s0, exec_lo, s1
	s_cbranch_execz .LBB3_15
; %bb.14:
	v_div_scale_f64 v[10:11], null, v[6:7], v[6:7], v[4:5]
	v_div_scale_f64 v[16:17], vcc_lo, v[4:5], v[6:7], v[4:5]
	s_delay_alu instid0(VALU_DEP_2) | instskip(SKIP_1) | instid1(TRANS32_DEP_1)
	v_rcp_f64_e32 v[12:13], v[10:11]
	v_nop
	v_fma_f64 v[14:15], -v[10:11], v[12:13], 1.0
	s_delay_alu instid0(VALU_DEP_1) | instskip(NEXT) | instid1(VALU_DEP_1)
	v_fmac_f64_e32 v[12:13], v[12:13], v[14:15]
	v_fma_f64 v[14:15], -v[10:11], v[12:13], 1.0
	s_delay_alu instid0(VALU_DEP_1) | instskip(NEXT) | instid1(VALU_DEP_1)
	v_fmac_f64_e32 v[12:13], v[12:13], v[14:15]
	v_mul_f64_e32 v[14:15], v[16:17], v[12:13]
	s_delay_alu instid0(VALU_DEP_1) | instskip(NEXT) | instid1(VALU_DEP_1)
	v_fma_f64 v[10:11], -v[10:11], v[14:15], v[16:17]
	v_div_fmas_f64 v[10:11], v[10:11], v[12:13], v[14:15]
	s_delay_alu instid0(VALU_DEP_1) | instskip(NEXT) | instid1(VALU_DEP_1)
	v_div_fixup_f64 v[10:11], v[10:11], v[6:7], v[4:5]
	v_fmac_f64_e32 v[6:7], v[4:5], v[10:11]
	s_delay_alu instid0(VALU_DEP_1) | instskip(SKIP_1) | instid1(VALU_DEP_2)
	v_div_scale_f64 v[4:5], null, v[6:7], v[6:7], 1.0
	v_div_scale_f64 v[16:17], vcc_lo, 1.0, v[6:7], 1.0
	v_rcp_f64_e32 v[12:13], v[4:5]
	v_nop
	s_delay_alu instid0(TRANS32_DEP_1) | instskip(NEXT) | instid1(VALU_DEP_1)
	v_fma_f64 v[14:15], -v[4:5], v[12:13], 1.0
	v_fmac_f64_e32 v[12:13], v[12:13], v[14:15]
	s_delay_alu instid0(VALU_DEP_1) | instskip(NEXT) | instid1(VALU_DEP_1)
	v_fma_f64 v[14:15], -v[4:5], v[12:13], 1.0
	v_fmac_f64_e32 v[12:13], v[12:13], v[14:15]
	s_delay_alu instid0(VALU_DEP_1) | instskip(NEXT) | instid1(VALU_DEP_1)
	v_mul_f64_e32 v[14:15], v[16:17], v[12:13]
	v_fma_f64 v[4:5], -v[4:5], v[14:15], v[16:17]
	s_delay_alu instid0(VALU_DEP_1) | instskip(NEXT) | instid1(VALU_DEP_1)
	v_div_fmas_f64 v[4:5], v[4:5], v[12:13], v[14:15]
	v_div_fixup_f64 v[4:5], v[4:5], v[6:7], 1.0
	v_fma_f64 v[6:7], v[0:1], v[10:11], v[2:3]
	v_fma_f64 v[0:1], v[2:3], v[10:11], -v[0:1]
	s_delay_alu instid0(VALU_DEP_2) | instskip(NEXT) | instid1(VALU_DEP_2)
	v_mul_f64_e32 v[6:7], v[6:7], v[4:5]
	v_mul_f64_e32 v[2:3], v[0:1], v[4:5]
	s_delay_alu instid0(VALU_DEP_2)
	v_mov_b64_e32 v[0:1], v[6:7]
                                        ; implicit-def: $vgpr4_vgpr5
.LBB3_15:
	s_and_not1_saveexec_b32 s0, s0
	s_cbranch_execz .LBB3_17
; %bb.16:
	v_div_scale_f64 v[10:11], null, v[4:5], v[4:5], v[6:7]
	v_div_scale_f64 v[16:17], vcc_lo, v[6:7], v[4:5], v[6:7]
	s_delay_alu instid0(VALU_DEP_2) | instskip(SKIP_1) | instid1(TRANS32_DEP_1)
	v_rcp_f64_e32 v[12:13], v[10:11]
	v_nop
	v_fma_f64 v[14:15], -v[10:11], v[12:13], 1.0
	s_delay_alu instid0(VALU_DEP_1) | instskip(NEXT) | instid1(VALU_DEP_1)
	v_fmac_f64_e32 v[12:13], v[12:13], v[14:15]
	v_fma_f64 v[14:15], -v[10:11], v[12:13], 1.0
	s_delay_alu instid0(VALU_DEP_1) | instskip(NEXT) | instid1(VALU_DEP_1)
	v_fmac_f64_e32 v[12:13], v[12:13], v[14:15]
	v_mul_f64_e32 v[14:15], v[16:17], v[12:13]
	s_delay_alu instid0(VALU_DEP_1) | instskip(NEXT) | instid1(VALU_DEP_1)
	v_fma_f64 v[10:11], -v[10:11], v[14:15], v[16:17]
	v_div_fmas_f64 v[10:11], v[10:11], v[12:13], v[14:15]
	s_delay_alu instid0(VALU_DEP_1) | instskip(NEXT) | instid1(VALU_DEP_1)
	v_div_fixup_f64 v[10:11], v[10:11], v[4:5], v[6:7]
	v_fmac_f64_e32 v[4:5], v[6:7], v[10:11]
	s_delay_alu instid0(VALU_DEP_1) | instskip(SKIP_1) | instid1(VALU_DEP_2)
	v_div_scale_f64 v[6:7], null, v[4:5], v[4:5], 1.0
	v_div_scale_f64 v[16:17], vcc_lo, 1.0, v[4:5], 1.0
	v_rcp_f64_e32 v[12:13], v[6:7]
	v_nop
	s_delay_alu instid0(TRANS32_DEP_1) | instskip(NEXT) | instid1(VALU_DEP_1)
	v_fma_f64 v[14:15], -v[6:7], v[12:13], 1.0
	v_fmac_f64_e32 v[12:13], v[12:13], v[14:15]
	s_delay_alu instid0(VALU_DEP_1) | instskip(NEXT) | instid1(VALU_DEP_1)
	v_fma_f64 v[14:15], -v[6:7], v[12:13], 1.0
	v_fmac_f64_e32 v[12:13], v[12:13], v[14:15]
	s_delay_alu instid0(VALU_DEP_1) | instskip(NEXT) | instid1(VALU_DEP_1)
	v_mul_f64_e32 v[14:15], v[16:17], v[12:13]
	v_fma_f64 v[6:7], -v[6:7], v[14:15], v[16:17]
	s_delay_alu instid0(VALU_DEP_1) | instskip(NEXT) | instid1(VALU_DEP_1)
	v_div_fmas_f64 v[6:7], v[6:7], v[12:13], v[14:15]
	v_div_fixup_f64 v[4:5], v[6:7], v[4:5], 1.0
	v_fma_f64 v[6:7], v[2:3], v[10:11], v[0:1]
	v_fma_f64 v[0:1], -v[0:1], v[10:11], v[2:3]
	s_delay_alu instid0(VALU_DEP_2) | instskip(NEXT) | instid1(VALU_DEP_2)
	v_mul_f64_e32 v[6:7], v[6:7], v[4:5]
	v_mul_f64_e32 v[2:3], v[0:1], v[4:5]
	s_delay_alu instid0(VALU_DEP_2)
	v_mov_b64_e32 v[0:1], v[6:7]
.LBB3_17:
	s_or_b32 exec_lo, exec_lo, s0
.LBB3_18:
	s_delay_alu instid0(SALU_CYCLE_1)
	s_or_b32 exec_lo, exec_lo, s2
	s_wait_loadcnt 0x0
	global_store_b128 v[8:9], v[0:3], off
.LBB3_19:
	s_endpgm
	.section	.rodata,"a",@progbits
	.p2align	6, 0x0
	.amdhsa_kernel _ZN9rocsolver6v33100L35nonunit_forward_substitution_kernelI19rocblas_complex_numIdEiPS3_EEvT0_S5_T1_S5_S5_llS6_S5_S5_ll
		.amdhsa_group_segment_fixed_size 0
		.amdhsa_private_segment_fixed_size 0
		.amdhsa_kernarg_size 328
		.amdhsa_user_sgpr_count 2
		.amdhsa_user_sgpr_dispatch_ptr 0
		.amdhsa_user_sgpr_queue_ptr 0
		.amdhsa_user_sgpr_kernarg_segment_ptr 1
		.amdhsa_user_sgpr_dispatch_id 0
		.amdhsa_user_sgpr_kernarg_preload_length 0
		.amdhsa_user_sgpr_kernarg_preload_offset 0
		.amdhsa_user_sgpr_private_segment_size 0
		.amdhsa_wavefront_size32 1
		.amdhsa_uses_dynamic_stack 0
		.amdhsa_enable_private_segment 0
		.amdhsa_system_sgpr_workgroup_id_x 1
		.amdhsa_system_sgpr_workgroup_id_y 1
		.amdhsa_system_sgpr_workgroup_id_z 1
		.amdhsa_system_sgpr_workgroup_info 0
		.amdhsa_system_vgpr_workitem_id 1
		.amdhsa_next_free_vgpr 24
		.amdhsa_next_free_sgpr 16
		.amdhsa_named_barrier_count 0
		.amdhsa_reserve_vcc 1
		.amdhsa_float_round_mode_32 0
		.amdhsa_float_round_mode_16_64 0
		.amdhsa_float_denorm_mode_32 3
		.amdhsa_float_denorm_mode_16_64 3
		.amdhsa_fp16_overflow 0
		.amdhsa_memory_ordered 1
		.amdhsa_forward_progress 1
		.amdhsa_inst_pref_size 13
		.amdhsa_round_robin_scheduling 0
		.amdhsa_exception_fp_ieee_invalid_op 0
		.amdhsa_exception_fp_denorm_src 0
		.amdhsa_exception_fp_ieee_div_zero 0
		.amdhsa_exception_fp_ieee_overflow 0
		.amdhsa_exception_fp_ieee_underflow 0
		.amdhsa_exception_fp_ieee_inexact 0
		.amdhsa_exception_int_div_zero 0
	.end_amdhsa_kernel
	.section	.text._ZN9rocsolver6v33100L35nonunit_forward_substitution_kernelI19rocblas_complex_numIdEiPS3_EEvT0_S5_T1_S5_S5_llS6_S5_S5_ll,"axG",@progbits,_ZN9rocsolver6v33100L35nonunit_forward_substitution_kernelI19rocblas_complex_numIdEiPS3_EEvT0_S5_T1_S5_S5_llS6_S5_S5_ll,comdat
.Lfunc_end3:
	.size	_ZN9rocsolver6v33100L35nonunit_forward_substitution_kernelI19rocblas_complex_numIdEiPS3_EEvT0_S5_T1_S5_S5_llS6_S5_S5_ll, .Lfunc_end3-_ZN9rocsolver6v33100L35nonunit_forward_substitution_kernelI19rocblas_complex_numIdEiPS3_EEvT0_S5_T1_S5_S5_llS6_S5_S5_ll
                                        ; -- End function
	.set _ZN9rocsolver6v33100L35nonunit_forward_substitution_kernelI19rocblas_complex_numIdEiPS3_EEvT0_S5_T1_S5_S5_llS6_S5_S5_ll.num_vgpr, 24
	.set _ZN9rocsolver6v33100L35nonunit_forward_substitution_kernelI19rocblas_complex_numIdEiPS3_EEvT0_S5_T1_S5_S5_llS6_S5_S5_ll.num_agpr, 0
	.set _ZN9rocsolver6v33100L35nonunit_forward_substitution_kernelI19rocblas_complex_numIdEiPS3_EEvT0_S5_T1_S5_S5_llS6_S5_S5_ll.numbered_sgpr, 16
	.set _ZN9rocsolver6v33100L35nonunit_forward_substitution_kernelI19rocblas_complex_numIdEiPS3_EEvT0_S5_T1_S5_S5_llS6_S5_S5_ll.num_named_barrier, 0
	.set _ZN9rocsolver6v33100L35nonunit_forward_substitution_kernelI19rocblas_complex_numIdEiPS3_EEvT0_S5_T1_S5_S5_llS6_S5_S5_ll.private_seg_size, 0
	.set _ZN9rocsolver6v33100L35nonunit_forward_substitution_kernelI19rocblas_complex_numIdEiPS3_EEvT0_S5_T1_S5_S5_llS6_S5_S5_ll.uses_vcc, 1
	.set _ZN9rocsolver6v33100L35nonunit_forward_substitution_kernelI19rocblas_complex_numIdEiPS3_EEvT0_S5_T1_S5_S5_llS6_S5_S5_ll.uses_flat_scratch, 0
	.set _ZN9rocsolver6v33100L35nonunit_forward_substitution_kernelI19rocblas_complex_numIdEiPS3_EEvT0_S5_T1_S5_S5_llS6_S5_S5_ll.has_dyn_sized_stack, 0
	.set _ZN9rocsolver6v33100L35nonunit_forward_substitution_kernelI19rocblas_complex_numIdEiPS3_EEvT0_S5_T1_S5_S5_llS6_S5_S5_ll.has_recursion, 0
	.set _ZN9rocsolver6v33100L35nonunit_forward_substitution_kernelI19rocblas_complex_numIdEiPS3_EEvT0_S5_T1_S5_S5_llS6_S5_S5_ll.has_indirect_call, 0
	.section	.AMDGPU.csdata,"",@progbits
; Kernel info:
; codeLenInByte = 1612
; TotalNumSgprs: 18
; NumVgprs: 24
; ScratchSize: 0
; MemoryBound: 0
; FloatMode: 240
; IeeeMode: 1
; LDSByteSize: 0 bytes/workgroup (compile time only)
; SGPRBlocks: 0
; VGPRBlocks: 1
; NumSGPRsForWavesPerEU: 18
; NumVGPRsForWavesPerEU: 24
; NamedBarCnt: 0
; Occupancy: 16
; WaveLimiterHint : 0
; COMPUTE_PGM_RSRC2:SCRATCH_EN: 0
; COMPUTE_PGM_RSRC2:USER_SGPR: 2
; COMPUTE_PGM_RSRC2:TRAP_HANDLER: 0
; COMPUTE_PGM_RSRC2:TGID_X_EN: 1
; COMPUTE_PGM_RSRC2:TGID_Y_EN: 1
; COMPUTE_PGM_RSRC2:TGID_Z_EN: 1
; COMPUTE_PGM_RSRC2:TIDIG_COMP_CNT: 1
	.section	.text._ZN9rocsolver6v33100L38conj_unit_backward_substitution_kernelI19rocblas_complex_numIdEiPS3_EEvT0_S5_T1_S5_S5_llS6_S5_S5_ll,"axG",@progbits,_ZN9rocsolver6v33100L38conj_unit_backward_substitution_kernelI19rocblas_complex_numIdEiPS3_EEvT0_S5_T1_S5_S5_llS6_S5_S5_ll,comdat
	.globl	_ZN9rocsolver6v33100L38conj_unit_backward_substitution_kernelI19rocblas_complex_numIdEiPS3_EEvT0_S5_T1_S5_S5_llS6_S5_S5_ll ; -- Begin function _ZN9rocsolver6v33100L38conj_unit_backward_substitution_kernelI19rocblas_complex_numIdEiPS3_EEvT0_S5_T1_S5_S5_llS6_S5_S5_ll
	.p2align	8
	.type	_ZN9rocsolver6v33100L38conj_unit_backward_substitution_kernelI19rocblas_complex_numIdEiPS3_EEvT0_S5_T1_S5_S5_llS6_S5_S5_ll,@function
_ZN9rocsolver6v33100L38conj_unit_backward_substitution_kernelI19rocblas_complex_numIdEiPS3_EEvT0_S5_T1_S5_S5_llS6_S5_S5_ll: ; @_ZN9rocsolver6v33100L38conj_unit_backward_substitution_kernelI19rocblas_complex_numIdEiPS3_EEvT0_S5_T1_S5_S5_llS6_S5_S5_ll
; %bb.0:
	s_clause 0x1
	s_load_u16 s3, s[0:1], 0x56
	s_load_b64 s[12:13], s[0:1], 0x0
	s_bfe_u32 s2, ttmp6, 0x40010
	s_and_b32 s4, ttmp7, 0xffff
	s_add_co_i32 s2, s2, 1
	s_bfe_u32 s6, ttmp6, 0x40004
	s_mul_i32 s5, s4, s2
	s_getreg_b32 s2, hwreg(HW_REG_IB_STS2, 6, 4)
	v_bfe_u32 v6, v0, 10, 10
	s_add_co_i32 s6, s6, s5
	s_cmp_eq_u32 s2, 0
	s_mov_b32 s15, 0
	s_cselect_b32 s4, s4, s6
	s_wait_kmcnt 0x0
	v_mad_u32 v1, s4, s3, v6
	s_mov_b32 s3, exec_lo
	s_delay_alu instid0(VALU_DEP_1)
	v_cmpx_gt_i32_e64 s13, v1
	s_cbranch_execz .LBB4_9
; %bb.1:
	s_load_b256 s[4:11], s[0:1], 0x28
	v_and_b32_e32 v10, 0x3ff, v0
	s_bfe_u32 s3, ttmp6, 0x40014
	s_bfe_u32 s13, ttmp6, 0x40008
	s_add_co_i32 s3, s3, 1
	s_wait_kmcnt 0x0
	v_mul_lo_u32 v0, s6, v10
	s_lshr_b32 s6, ttmp7, 16
	s_delay_alu instid0(SALU_CYCLE_1) | instskip(NEXT) | instid1(SALU_CYCLE_1)
	s_mul_i32 s3, s6, s3
	s_add_co_i32 s13, s13, s3
	s_cmp_eq_u32 s2, 0
	s_cselect_b32 s14, s6, s13
	s_delay_alu instid0(SALU_CYCLE_1) | instskip(NEXT) | instid1(VALU_DEP_1)
	s_mul_u64 s[2:3], s[10:11], s[14:15]
	v_mad_u32 v4, v1, s7, v0
	s_lshl_b64 s[2:3], s[2:3], 4
	s_delay_alu instid0(SALU_CYCLE_1)
	s_add_nc_u64 s[2:3], s[4:5], s[2:3]
	s_lshl_b64 s[4:5], s[8:9], 4
	s_cmp_lt_i32 s12, 2
	s_add_nc_u64 s[2:3], s[2:3], s[4:5]
	global_load_b128 v[0:3], v4, s[2:3] scale_offset
	v_ashrrev_i32_e32 v5, 31, v4
	s_cbranch_scc1 .LBB4_8
; %bb.2:
	s_load_b256 s[4:11], s[0:1], 0x8
	s_add_co_i32 s12, s12, -1
	v_lshl_add_u32 v12, v6, 4, 0
	s_wait_kmcnt 0x0
	s_mul_i32 s0, s7, s12
	s_delay_alu instid0(SALU_CYCLE_1) | instskip(SKIP_1) | instid1(SALU_CYCLE_1)
	v_mad_u32 v11, s6, v10, s0
	s_mul_u64 s[0:1], s[10:11], s[14:15]
	s_lshl_b64 s[0:1], s[0:1], 4
	s_delay_alu instid0(SALU_CYCLE_1) | instskip(SKIP_1) | instid1(SALU_CYCLE_1)
	s_add_nc_u64 s[0:1], s[4:5], s[0:1]
	s_lshl_b64 s[4:5], s[8:9], 4
	s_add_nc_u64 s[0:1], s[0:1], s[4:5]
	s_branch .LBB4_4
.LBB4_3:                                ;   in Loop: Header=BB4_4 Depth=1
	s_or_b32 exec_lo, exec_lo, s4
	s_delay_alu instid0(VALU_DEP_2) | instskip(NEXT) | instid1(VALU_DEP_2)
	v_add_f64_e64 v[0:1], v[0:1], -v[6:7]
	v_add_f64_e64 v[2:3], v[2:3], -v[8:9]
	v_subrev_nc_u32_e32 v11, s7, v11
	s_add_co_i32 s4, s12, 1
	s_add_co_i32 s12, s12, -1
	s_cmp_lt_u32 s4, 3
	s_cbranch_scc1 .LBB4_8
.LBB4_4:                                ; =>This Inner Loop Header: Depth=1
	s_mov_b32 s4, exec_lo
	s_wait_loadcnt 0x0
	s_barrier_signal -1
	s_barrier_wait -1
	v_cmpx_eq_u32_e64 s12, v10
; %bb.5:                                ;   in Loop: Header=BB4_4 Depth=1
	ds_store_2addr_b64 v12, v[0:1], v[2:3] offset1:1
; %bb.6:                                ;   in Loop: Header=BB4_4 Depth=1
	s_or_b32 exec_lo, exec_lo, s4
	v_mov_b64_e32 v[8:9], 0
	v_mov_b64_e32 v[6:7], 0
	s_mov_b32 s4, exec_lo
	s_wait_dscnt 0x0
	s_barrier_signal -1
	s_barrier_wait -1
	v_cmpx_gt_i32_e64 s12, v10
	s_cbranch_execz .LBB4_3
; %bb.7:                                ;   in Loop: Header=BB4_4 Depth=1
	global_load_b128 v[14:17], v11, s[0:1] scale_offset
	ds_load_2addr_b64 v[18:21], v12 offset1:1
	s_wait_loadcnt_dscnt 0x0
	v_mul_f64_e32 v[6:7], v[16:17], v[20:21]
	v_mul_f64_e32 v[8:9], v[16:17], v[18:19]
	s_delay_alu instid0(VALU_DEP_2) | instskip(NEXT) | instid1(VALU_DEP_2)
	v_fmac_f64_e32 v[6:7], v[14:15], v[18:19]
	v_fma_f64 v[8:9], v[14:15], v[20:21], -v[8:9]
	s_branch .LBB4_3
.LBB4_8:
	s_wait_xcnt 0x0
	s_delay_alu instid0(VALU_DEP_1)
	v_lshl_add_u64 v[4:5], v[4:5], 4, s[2:3]
	s_wait_loadcnt 0x0
	global_store_b128 v[4:5], v[0:3], off
.LBB4_9:
	s_endpgm
	.section	.rodata,"a",@progbits
	.p2align	6, 0x0
	.amdhsa_kernel _ZN9rocsolver6v33100L38conj_unit_backward_substitution_kernelI19rocblas_complex_numIdEiPS3_EEvT0_S5_T1_S5_S5_llS6_S5_S5_ll
		.amdhsa_group_segment_fixed_size 0
		.amdhsa_private_segment_fixed_size 0
		.amdhsa_kernarg_size 328
		.amdhsa_user_sgpr_count 2
		.amdhsa_user_sgpr_dispatch_ptr 0
		.amdhsa_user_sgpr_queue_ptr 0
		.amdhsa_user_sgpr_kernarg_segment_ptr 1
		.amdhsa_user_sgpr_dispatch_id 0
		.amdhsa_user_sgpr_kernarg_preload_length 0
		.amdhsa_user_sgpr_kernarg_preload_offset 0
		.amdhsa_user_sgpr_private_segment_size 0
		.amdhsa_wavefront_size32 1
		.amdhsa_uses_dynamic_stack 0
		.amdhsa_enable_private_segment 0
		.amdhsa_system_sgpr_workgroup_id_x 1
		.amdhsa_system_sgpr_workgroup_id_y 1
		.amdhsa_system_sgpr_workgroup_id_z 1
		.amdhsa_system_sgpr_workgroup_info 0
		.amdhsa_system_vgpr_workitem_id 1
		.amdhsa_next_free_vgpr 22
		.amdhsa_next_free_sgpr 16
		.amdhsa_named_barrier_count 0
		.amdhsa_reserve_vcc 0
		.amdhsa_float_round_mode_32 0
		.amdhsa_float_round_mode_16_64 0
		.amdhsa_float_denorm_mode_32 3
		.amdhsa_float_denorm_mode_16_64 3
		.amdhsa_fp16_overflow 0
		.amdhsa_memory_ordered 1
		.amdhsa_forward_progress 1
		.amdhsa_inst_pref_size 5
		.amdhsa_round_robin_scheduling 0
		.amdhsa_exception_fp_ieee_invalid_op 0
		.amdhsa_exception_fp_denorm_src 0
		.amdhsa_exception_fp_ieee_div_zero 0
		.amdhsa_exception_fp_ieee_overflow 0
		.amdhsa_exception_fp_ieee_underflow 0
		.amdhsa_exception_fp_ieee_inexact 0
		.amdhsa_exception_int_div_zero 0
	.end_amdhsa_kernel
	.section	.text._ZN9rocsolver6v33100L38conj_unit_backward_substitution_kernelI19rocblas_complex_numIdEiPS3_EEvT0_S5_T1_S5_S5_llS6_S5_S5_ll,"axG",@progbits,_ZN9rocsolver6v33100L38conj_unit_backward_substitution_kernelI19rocblas_complex_numIdEiPS3_EEvT0_S5_T1_S5_S5_llS6_S5_S5_ll,comdat
.Lfunc_end4:
	.size	_ZN9rocsolver6v33100L38conj_unit_backward_substitution_kernelI19rocblas_complex_numIdEiPS3_EEvT0_S5_T1_S5_S5_llS6_S5_S5_ll, .Lfunc_end4-_ZN9rocsolver6v33100L38conj_unit_backward_substitution_kernelI19rocblas_complex_numIdEiPS3_EEvT0_S5_T1_S5_S5_llS6_S5_S5_ll
                                        ; -- End function
	.set _ZN9rocsolver6v33100L38conj_unit_backward_substitution_kernelI19rocblas_complex_numIdEiPS3_EEvT0_S5_T1_S5_S5_llS6_S5_S5_ll.num_vgpr, 22
	.set _ZN9rocsolver6v33100L38conj_unit_backward_substitution_kernelI19rocblas_complex_numIdEiPS3_EEvT0_S5_T1_S5_S5_llS6_S5_S5_ll.num_agpr, 0
	.set _ZN9rocsolver6v33100L38conj_unit_backward_substitution_kernelI19rocblas_complex_numIdEiPS3_EEvT0_S5_T1_S5_S5_llS6_S5_S5_ll.numbered_sgpr, 16
	.set _ZN9rocsolver6v33100L38conj_unit_backward_substitution_kernelI19rocblas_complex_numIdEiPS3_EEvT0_S5_T1_S5_S5_llS6_S5_S5_ll.num_named_barrier, 0
	.set _ZN9rocsolver6v33100L38conj_unit_backward_substitution_kernelI19rocblas_complex_numIdEiPS3_EEvT0_S5_T1_S5_S5_llS6_S5_S5_ll.private_seg_size, 0
	.set _ZN9rocsolver6v33100L38conj_unit_backward_substitution_kernelI19rocblas_complex_numIdEiPS3_EEvT0_S5_T1_S5_S5_llS6_S5_S5_ll.uses_vcc, 0
	.set _ZN9rocsolver6v33100L38conj_unit_backward_substitution_kernelI19rocblas_complex_numIdEiPS3_EEvT0_S5_T1_S5_S5_llS6_S5_S5_ll.uses_flat_scratch, 0
	.set _ZN9rocsolver6v33100L38conj_unit_backward_substitution_kernelI19rocblas_complex_numIdEiPS3_EEvT0_S5_T1_S5_S5_llS6_S5_S5_ll.has_dyn_sized_stack, 0
	.set _ZN9rocsolver6v33100L38conj_unit_backward_substitution_kernelI19rocblas_complex_numIdEiPS3_EEvT0_S5_T1_S5_S5_llS6_S5_S5_ll.has_recursion, 0
	.set _ZN9rocsolver6v33100L38conj_unit_backward_substitution_kernelI19rocblas_complex_numIdEiPS3_EEvT0_S5_T1_S5_S5_llS6_S5_S5_ll.has_indirect_call, 0
	.section	.AMDGPU.csdata,"",@progbits
; Kernel info:
; codeLenInByte = 516
; TotalNumSgprs: 16
; NumVgprs: 22
; ScratchSize: 0
; MemoryBound: 0
; FloatMode: 240
; IeeeMode: 1
; LDSByteSize: 0 bytes/workgroup (compile time only)
; SGPRBlocks: 0
; VGPRBlocks: 1
; NumSGPRsForWavesPerEU: 16
; NumVGPRsForWavesPerEU: 22
; NamedBarCnt: 0
; Occupancy: 16
; WaveLimiterHint : 0
; COMPUTE_PGM_RSRC2:SCRATCH_EN: 0
; COMPUTE_PGM_RSRC2:USER_SGPR: 2
; COMPUTE_PGM_RSRC2:TRAP_HANDLER: 0
; COMPUTE_PGM_RSRC2:TGID_X_EN: 1
; COMPUTE_PGM_RSRC2:TGID_Y_EN: 1
; COMPUTE_PGM_RSRC2:TGID_Z_EN: 1
; COMPUTE_PGM_RSRC2:TIDIG_COMP_CNT: 1
	.section	.text._ZN9rocsolver6v33100L41conj_nonunit_backward_substitution_kernelI19rocblas_complex_numIdEiPS3_EEvT0_S5_T1_S5_S5_llS6_S5_S5_ll,"axG",@progbits,_ZN9rocsolver6v33100L41conj_nonunit_backward_substitution_kernelI19rocblas_complex_numIdEiPS3_EEvT0_S5_T1_S5_S5_llS6_S5_S5_ll,comdat
	.globl	_ZN9rocsolver6v33100L41conj_nonunit_backward_substitution_kernelI19rocblas_complex_numIdEiPS3_EEvT0_S5_T1_S5_S5_llS6_S5_S5_ll ; -- Begin function _ZN9rocsolver6v33100L41conj_nonunit_backward_substitution_kernelI19rocblas_complex_numIdEiPS3_EEvT0_S5_T1_S5_S5_llS6_S5_S5_ll
	.p2align	8
	.type	_ZN9rocsolver6v33100L41conj_nonunit_backward_substitution_kernelI19rocblas_complex_numIdEiPS3_EEvT0_S5_T1_S5_S5_llS6_S5_S5_ll,@function
_ZN9rocsolver6v33100L41conj_nonunit_backward_substitution_kernelI19rocblas_complex_numIdEiPS3_EEvT0_S5_T1_S5_S5_llS6_S5_S5_ll: ; @_ZN9rocsolver6v33100L41conj_nonunit_backward_substitution_kernelI19rocblas_complex_numIdEiPS3_EEvT0_S5_T1_S5_S5_llS6_S5_S5_ll
; %bb.0:
	s_clause 0x1
	s_load_u16 s3, s[0:1], 0x56
	s_load_b64 s[12:13], s[0:1], 0x0
	s_bfe_u32 s2, ttmp6, 0x40010
	s_and_b32 s4, ttmp7, 0xffff
	s_add_co_i32 s2, s2, 1
	s_bfe_u32 s6, ttmp6, 0x40004
	s_mul_i32 s5, s4, s2
	s_getreg_b32 s2, hwreg(HW_REG_IB_STS2, 6, 4)
	v_bfe_u32 v4, v0, 10, 10
	s_add_co_i32 s6, s6, s5
	s_cmp_eq_u32 s2, 0
	s_mov_b32 s15, 0
	s_cselect_b32 s4, s4, s6
	s_wait_kmcnt 0x0
	v_mad_u32 v1, s4, s3, v4
	s_mov_b32 s3, exec_lo
	s_delay_alu instid0(VALU_DEP_1)
	v_cmpx_gt_i32_e64 s13, v1
	s_cbranch_execz .LBB5_19
; %bb.1:
	s_load_b256 s[4:11], s[0:1], 0x28
	v_and_b32_e32 v12, 0x3ff, v0
	s_bfe_u32 s3, ttmp6, 0x40014
	s_bfe_u32 s13, ttmp6, 0x40008
	s_add_co_i32 s3, s3, 1
	s_wait_kmcnt 0x0
	v_mul_lo_u32 v0, s6, v12
	s_lshr_b32 s6, ttmp7, 16
	s_delay_alu instid0(SALU_CYCLE_1) | instskip(NEXT) | instid1(SALU_CYCLE_1)
	s_mul_i32 s3, s6, s3
	s_add_co_i32 s13, s13, s3
	s_cmp_eq_u32 s2, 0
	s_cselect_b32 s14, s6, s13
	s_delay_alu instid0(SALU_CYCLE_1) | instskip(NEXT) | instid1(VALU_DEP_1)
	s_mul_u64 s[2:3], s[10:11], s[14:15]
	v_mad_u32 v8, v1, s7, v0
	s_lshl_b64 s[2:3], s[2:3], 4
	s_delay_alu instid0(SALU_CYCLE_1) | instskip(SKIP_1) | instid1(SALU_CYCLE_1)
	s_add_nc_u64 s[2:3], s[4:5], s[2:3]
	s_lshl_b64 s[4:5], s[8:9], 4
	s_add_nc_u64 s[2:3], s[2:3], s[4:5]
	global_load_b128 v[0:3], v8, s[2:3] scale_offset
	s_clause 0x1
	s_load_b128 s[4:7], s[0:1], 0x18
	s_load_b64 s[8:9], s[0:1], 0x8
	v_ashrrev_i32_e32 v9, 31, v8
	s_wait_kmcnt 0x0
	s_mul_u64 s[6:7], s[6:7], s[14:15]
	s_lshl_b64 s[4:5], s[4:5], 4
	s_lshl_b64 s[6:7], s[6:7], 4
	s_cmp_lt_i32 s12, 2
	s_add_nc_u64 s[6:7], s[8:9], s[6:7]
	s_delay_alu instid0(SALU_CYCLE_1)
	s_add_nc_u64 s[4:5], s[6:7], s[4:5]
	s_cbranch_scc1 .LBB5_12
; %bb.2:
	s_load_b64 s[0:1], s[0:1], 0x10
	v_lshl_add_u32 v14, v4, 4, 0
	s_wait_kmcnt 0x0
	s_add_co_i32 s6, s1, s0
	s_delay_alu instid0(SALU_CYCLE_1) | instskip(SKIP_1) | instid1(SALU_CYCLE_1)
	v_mul_lo_u32 v6, s6, v12
	s_add_co_i32 s6, s12, -1
	s_mul_i32 s7, s1, s6
	s_delay_alu instid0(SALU_CYCLE_1) | instskip(NEXT) | instid1(VALU_DEP_2)
	v_mad_u32 v13, s0, v12, s7
	v_ashrrev_i32_e32 v7, 31, v6
	s_delay_alu instid0(VALU_DEP_1)
	v_lshl_add_u64 v[10:11], v[6:7], 4, s[4:5]
	s_branch .LBB5_4
.LBB5_3:                                ;   in Loop: Header=BB5_4 Depth=1
	s_or_b32 exec_lo, exec_lo, s0
	s_delay_alu instid0(VALU_DEP_2) | instskip(NEXT) | instid1(VALU_DEP_2)
	v_add_f64_e64 v[0:1], v[0:1], -v[4:5]
	v_add_f64_e64 v[2:3], v[2:3], -v[6:7]
	v_subrev_nc_u32_e32 v13, s1, v13
	s_add_co_i32 s0, s6, 1
	s_add_co_i32 s6, s6, -1
	s_cmp_lt_u32 s0, 3
	s_cbranch_scc1 .LBB5_12
.LBB5_4:                                ; =>This Inner Loop Header: Depth=1
	s_mov_b32 s0, exec_lo
	s_wait_loadcnt 0x0
	s_barrier_signal -1
	s_barrier_wait -1
	v_cmpx_eq_u32_e64 s6, v12
	s_cbranch_execz .LBB5_10
; %bb.5:                                ;   in Loop: Header=BB5_4 Depth=1
	global_load_b128 v[4:7], v[10:11], off
	s_wait_loadcnt 0x0
	v_cmp_ngt_f64_e64 s7, |v[4:5]|, |v[6:7]|
	s_and_saveexec_b32 s8, s7
	s_delay_alu instid0(SALU_CYCLE_1)
	s_xor_b32 s7, exec_lo, s8
	s_cbranch_execz .LBB5_7
; %bb.6:                                ;   in Loop: Header=BB5_4 Depth=1
	v_div_scale_f64 v[16:17], null, -v[6:7], -v[6:7], v[4:5]
	v_div_scale_f64 v[22:23], vcc_lo, v[4:5], -v[6:7], v[4:5]
	s_delay_alu instid0(VALU_DEP_2) | instskip(SKIP_1) | instid1(TRANS32_DEP_1)
	v_rcp_f64_e32 v[18:19], v[16:17]
	v_nop
	v_fma_f64 v[20:21], -v[16:17], v[18:19], 1.0
	s_delay_alu instid0(VALU_DEP_1) | instskip(NEXT) | instid1(VALU_DEP_1)
	v_fmac_f64_e32 v[18:19], v[18:19], v[20:21]
	v_fma_f64 v[20:21], -v[16:17], v[18:19], 1.0
	s_delay_alu instid0(VALU_DEP_1) | instskip(NEXT) | instid1(VALU_DEP_1)
	v_fmac_f64_e32 v[18:19], v[18:19], v[20:21]
	v_mul_f64_e32 v[20:21], v[22:23], v[18:19]
	s_delay_alu instid0(VALU_DEP_1) | instskip(NEXT) | instid1(VALU_DEP_1)
	v_fma_f64 v[16:17], -v[16:17], v[20:21], v[22:23]
	v_div_fmas_f64 v[16:17], v[16:17], v[18:19], v[20:21]
	s_delay_alu instid0(VALU_DEP_1) | instskip(NEXT) | instid1(VALU_DEP_1)
	v_div_fixup_f64 v[16:17], v[16:17], -v[6:7], v[4:5]
	v_fma_f64 v[4:5], v[4:5], v[16:17], -v[6:7]
	s_delay_alu instid0(VALU_DEP_1) | instskip(SKIP_1) | instid1(VALU_DEP_2)
	v_div_scale_f64 v[6:7], null, v[4:5], v[4:5], 1.0
	v_div_scale_f64 v[22:23], vcc_lo, 1.0, v[4:5], 1.0
	v_rcp_f64_e32 v[18:19], v[6:7]
	v_nop
	s_delay_alu instid0(TRANS32_DEP_1) | instskip(NEXT) | instid1(VALU_DEP_1)
	v_fma_f64 v[20:21], -v[6:7], v[18:19], 1.0
	v_fmac_f64_e32 v[18:19], v[18:19], v[20:21]
	s_delay_alu instid0(VALU_DEP_1) | instskip(NEXT) | instid1(VALU_DEP_1)
	v_fma_f64 v[20:21], -v[6:7], v[18:19], 1.0
	v_fmac_f64_e32 v[18:19], v[18:19], v[20:21]
	s_delay_alu instid0(VALU_DEP_1) | instskip(NEXT) | instid1(VALU_DEP_1)
	v_mul_f64_e32 v[20:21], v[22:23], v[18:19]
	v_fma_f64 v[6:7], -v[6:7], v[20:21], v[22:23]
	s_delay_alu instid0(VALU_DEP_1) | instskip(NEXT) | instid1(VALU_DEP_1)
	v_div_fmas_f64 v[6:7], v[6:7], v[18:19], v[20:21]
	v_div_fixup_f64 v[4:5], v[6:7], v[4:5], 1.0
	v_fma_f64 v[6:7], v[0:1], v[16:17], v[2:3]
	v_fma_f64 v[0:1], v[2:3], v[16:17], -v[0:1]
	s_delay_alu instid0(VALU_DEP_2) | instskip(NEXT) | instid1(VALU_DEP_2)
	v_mul_f64_e32 v[6:7], v[6:7], v[4:5]
	v_mul_f64_e32 v[2:3], v[0:1], v[4:5]
	s_delay_alu instid0(VALU_DEP_2)
	v_mov_b64_e32 v[0:1], v[6:7]
                                        ; implicit-def: $vgpr4_vgpr5
.LBB5_7:                                ;   in Loop: Header=BB5_4 Depth=1
	s_and_not1_saveexec_b32 s7, s7
	s_cbranch_execz .LBB5_9
; %bb.8:                                ;   in Loop: Header=BB5_4 Depth=1
	v_div_scale_f64 v[16:17], null, v[4:5], v[4:5], -v[6:7]
	v_div_scale_f64 v[22:23], vcc_lo, -v[6:7], v[4:5], -v[6:7]
	s_delay_alu instid0(VALU_DEP_2) | instskip(SKIP_1) | instid1(TRANS32_DEP_1)
	v_rcp_f64_e32 v[18:19], v[16:17]
	v_nop
	v_fma_f64 v[20:21], -v[16:17], v[18:19], 1.0
	s_delay_alu instid0(VALU_DEP_1) | instskip(NEXT) | instid1(VALU_DEP_1)
	v_fmac_f64_e32 v[18:19], v[18:19], v[20:21]
	v_fma_f64 v[20:21], -v[16:17], v[18:19], 1.0
	s_delay_alu instid0(VALU_DEP_1) | instskip(NEXT) | instid1(VALU_DEP_1)
	v_fmac_f64_e32 v[18:19], v[18:19], v[20:21]
	v_mul_f64_e32 v[20:21], v[22:23], v[18:19]
	s_delay_alu instid0(VALU_DEP_1) | instskip(NEXT) | instid1(VALU_DEP_1)
	v_fma_f64 v[16:17], -v[16:17], v[20:21], v[22:23]
	v_div_fmas_f64 v[16:17], v[16:17], v[18:19], v[20:21]
	s_delay_alu instid0(VALU_DEP_1) | instskip(NEXT) | instid1(VALU_DEP_1)
	v_div_fixup_f64 v[16:17], v[16:17], v[4:5], -v[6:7]
	v_fma_f64 v[4:5], -v[6:7], v[16:17], v[4:5]
	s_delay_alu instid0(VALU_DEP_1) | instskip(SKIP_1) | instid1(VALU_DEP_2)
	v_div_scale_f64 v[6:7], null, v[4:5], v[4:5], 1.0
	v_div_scale_f64 v[22:23], vcc_lo, 1.0, v[4:5], 1.0
	v_rcp_f64_e32 v[18:19], v[6:7]
	v_nop
	s_delay_alu instid0(TRANS32_DEP_1) | instskip(NEXT) | instid1(VALU_DEP_1)
	v_fma_f64 v[20:21], -v[6:7], v[18:19], 1.0
	v_fmac_f64_e32 v[18:19], v[18:19], v[20:21]
	s_delay_alu instid0(VALU_DEP_1) | instskip(NEXT) | instid1(VALU_DEP_1)
	v_fma_f64 v[20:21], -v[6:7], v[18:19], 1.0
	v_fmac_f64_e32 v[18:19], v[18:19], v[20:21]
	s_delay_alu instid0(VALU_DEP_1) | instskip(NEXT) | instid1(VALU_DEP_1)
	v_mul_f64_e32 v[20:21], v[22:23], v[18:19]
	v_fma_f64 v[6:7], -v[6:7], v[20:21], v[22:23]
	s_delay_alu instid0(VALU_DEP_1) | instskip(NEXT) | instid1(VALU_DEP_1)
	v_div_fmas_f64 v[6:7], v[6:7], v[18:19], v[20:21]
	v_div_fixup_f64 v[4:5], v[6:7], v[4:5], 1.0
	v_fma_f64 v[6:7], v[2:3], v[16:17], v[0:1]
	v_fma_f64 v[0:1], -v[0:1], v[16:17], v[2:3]
	s_delay_alu instid0(VALU_DEP_2) | instskip(NEXT) | instid1(VALU_DEP_2)
	v_mul_f64_e32 v[6:7], v[6:7], v[4:5]
	v_mul_f64_e32 v[2:3], v[0:1], v[4:5]
	s_delay_alu instid0(VALU_DEP_2)
	v_mov_b64_e32 v[0:1], v[6:7]
.LBB5_9:                                ;   in Loop: Header=BB5_4 Depth=1
	s_or_b32 exec_lo, exec_lo, s7
	ds_store_2addr_b64 v14, v[0:1], v[2:3] offset1:1
.LBB5_10:                               ;   in Loop: Header=BB5_4 Depth=1
	s_or_b32 exec_lo, exec_lo, s0
	v_mov_b64_e32 v[4:5], 0
	v_mov_b64_e32 v[6:7], 0
	s_mov_b32 s0, exec_lo
	s_wait_dscnt 0x0
	s_barrier_signal -1
	s_barrier_wait -1
	v_cmpx_gt_i32_e64 s6, v12
	s_cbranch_execz .LBB5_3
; %bb.11:                               ;   in Loop: Header=BB5_4 Depth=1
	global_load_b128 v[16:19], v13, s[4:5] scale_offset
	ds_load_2addr_b64 v[20:23], v14 offset1:1
	s_wait_loadcnt_dscnt 0x0
	v_mul_f64_e32 v[4:5], v[18:19], v[22:23]
	v_mul_f64_e32 v[6:7], v[18:19], v[20:21]
	s_delay_alu instid0(VALU_DEP_2) | instskip(NEXT) | instid1(VALU_DEP_2)
	v_fmac_f64_e32 v[4:5], v[16:17], v[20:21]
	v_fma_f64 v[6:7], v[16:17], v[22:23], -v[6:7]
	s_branch .LBB5_3
.LBB5_12:
	v_lshl_add_u64 v[4:5], v[8:9], 4, s[2:3]
	s_mov_b32 s6, exec_lo
	v_cmpx_eq_u32_e32 0, v12
	s_cbranch_execz .LBB5_18
; %bb.13:
	s_load_b128 s[0:3], s[4:5], 0x0
	s_wait_kmcnt 0x0
	v_cmp_ngt_f64_e64 s4, |s[0:1]|, |s[2:3]|
	s_and_b32 vcc_lo, exec_lo, s4
	s_cbranch_vccz .LBB5_15
; %bb.14:
	v_div_scale_f64 v[6:7], null, -s[2:3], -s[2:3], s[0:1]
	v_div_scale_f64 v[12:13], vcc_lo, s[0:1], -s[2:3], s[0:1]
	s_delay_alu instid0(VALU_DEP_2) | instskip(SKIP_1) | instid1(TRANS32_DEP_1)
	v_rcp_f64_e32 v[8:9], v[6:7]
	v_nop
	v_fma_f64 v[10:11], -v[6:7], v[8:9], 1.0
	s_delay_alu instid0(VALU_DEP_1) | instskip(NEXT) | instid1(VALU_DEP_1)
	v_fmac_f64_e32 v[8:9], v[8:9], v[10:11]
	v_fma_f64 v[10:11], -v[6:7], v[8:9], 1.0
	s_delay_alu instid0(VALU_DEP_1) | instskip(NEXT) | instid1(VALU_DEP_1)
	v_fmac_f64_e32 v[8:9], v[8:9], v[10:11]
	v_mul_f64_e32 v[10:11], v[12:13], v[8:9]
	s_delay_alu instid0(VALU_DEP_1) | instskip(NEXT) | instid1(VALU_DEP_1)
	v_fma_f64 v[6:7], -v[6:7], v[10:11], v[12:13]
	v_div_fmas_f64 v[6:7], v[6:7], v[8:9], v[10:11]
	s_delay_alu instid0(VALU_DEP_1) | instskip(NEXT) | instid1(VALU_DEP_1)
	v_div_fixup_f64 v[6:7], v[6:7], -s[2:3], s[0:1]
	v_fma_f64 v[8:9], s[0:1], v[6:7], -s[2:3]
	s_delay_alu instid0(VALU_DEP_1) | instskip(SKIP_1) | instid1(VALU_DEP_2)
	v_div_scale_f64 v[10:11], null, v[8:9], v[8:9], 1.0
	v_div_scale_f64 v[16:17], vcc_lo, 1.0, v[8:9], 1.0
	v_rcp_f64_e32 v[12:13], v[10:11]
	v_nop
	s_delay_alu instid0(TRANS32_DEP_1) | instskip(NEXT) | instid1(VALU_DEP_1)
	v_fma_f64 v[14:15], -v[10:11], v[12:13], 1.0
	v_fmac_f64_e32 v[12:13], v[12:13], v[14:15]
	s_delay_alu instid0(VALU_DEP_1) | instskip(NEXT) | instid1(VALU_DEP_1)
	v_fma_f64 v[14:15], -v[10:11], v[12:13], 1.0
	v_fmac_f64_e32 v[12:13], v[12:13], v[14:15]
	s_delay_alu instid0(VALU_DEP_1) | instskip(NEXT) | instid1(VALU_DEP_1)
	v_mul_f64_e32 v[14:15], v[16:17], v[12:13]
	v_fma_f64 v[10:11], -v[10:11], v[14:15], v[16:17]
	s_delay_alu instid0(VALU_DEP_1) | instskip(SKIP_3) | instid1(VALU_DEP_3)
	v_div_fmas_f64 v[10:11], v[10:11], v[12:13], v[14:15]
	s_wait_loadcnt 0x0
	v_fma_f64 v[12:13], v[0:1], v[6:7], v[2:3]
	v_fma_f64 v[6:7], v[2:3], v[6:7], -v[0:1]
	v_div_fixup_f64 v[10:11], v[10:11], v[8:9], 1.0
	s_delay_alu instid0(VALU_DEP_1) | instskip(NEXT) | instid1(VALU_DEP_3)
	v_mul_f64_e32 v[8:9], v[12:13], v[10:11]
	v_mul_f64_e32 v[6:7], v[6:7], v[10:11]
	s_cbranch_execz .LBB5_16
	s_branch .LBB5_17
.LBB5_15:
                                        ; implicit-def: $vgpr6_vgpr7
                                        ; implicit-def: $vgpr8_vgpr9
.LBB5_16:
	v_div_scale_f64 v[6:7], null, s[0:1], s[0:1], -s[2:3]
	v_div_scale_f64 v[12:13], vcc_lo, -s[2:3], s[0:1], -s[2:3]
	s_delay_alu instid0(VALU_DEP_2) | instskip(SKIP_1) | instid1(TRANS32_DEP_1)
	v_rcp_f64_e32 v[8:9], v[6:7]
	v_nop
	v_fma_f64 v[10:11], -v[6:7], v[8:9], 1.0
	s_delay_alu instid0(VALU_DEP_1) | instskip(NEXT) | instid1(VALU_DEP_1)
	v_fmac_f64_e32 v[8:9], v[8:9], v[10:11]
	v_fma_f64 v[10:11], -v[6:7], v[8:9], 1.0
	s_delay_alu instid0(VALU_DEP_1) | instskip(NEXT) | instid1(VALU_DEP_1)
	v_fmac_f64_e32 v[8:9], v[8:9], v[10:11]
	v_mul_f64_e32 v[10:11], v[12:13], v[8:9]
	s_delay_alu instid0(VALU_DEP_1) | instskip(NEXT) | instid1(VALU_DEP_1)
	v_fma_f64 v[6:7], -v[6:7], v[10:11], v[12:13]
	v_div_fmas_f64 v[6:7], v[6:7], v[8:9], v[10:11]
	s_delay_alu instid0(VALU_DEP_1) | instskip(NEXT) | instid1(VALU_DEP_1)
	v_div_fixup_f64 v[6:7], v[6:7], s[0:1], -s[2:3]
	v_fma_f64 v[8:9], -s[2:3], v[6:7], s[0:1]
	s_delay_alu instid0(VALU_DEP_1) | instskip(SKIP_1) | instid1(VALU_DEP_2)
	v_div_scale_f64 v[10:11], null, v[8:9], v[8:9], 1.0
	v_div_scale_f64 v[16:17], vcc_lo, 1.0, v[8:9], 1.0
	v_rcp_f64_e32 v[12:13], v[10:11]
	v_nop
	s_delay_alu instid0(TRANS32_DEP_1) | instskip(NEXT) | instid1(VALU_DEP_1)
	v_fma_f64 v[14:15], -v[10:11], v[12:13], 1.0
	v_fmac_f64_e32 v[12:13], v[12:13], v[14:15]
	s_delay_alu instid0(VALU_DEP_1) | instskip(NEXT) | instid1(VALU_DEP_1)
	v_fma_f64 v[14:15], -v[10:11], v[12:13], 1.0
	v_fmac_f64_e32 v[12:13], v[12:13], v[14:15]
	s_delay_alu instid0(VALU_DEP_1) | instskip(NEXT) | instid1(VALU_DEP_1)
	v_mul_f64_e32 v[14:15], v[16:17], v[12:13]
	v_fma_f64 v[10:11], -v[10:11], v[14:15], v[16:17]
	s_delay_alu instid0(VALU_DEP_1) | instskip(SKIP_3) | instid1(VALU_DEP_3)
	v_div_fmas_f64 v[10:11], v[10:11], v[12:13], v[14:15]
	s_wait_loadcnt 0x0
	v_fma_f64 v[12:13], v[2:3], v[6:7], v[0:1]
	v_fma_f64 v[0:1], -v[0:1], v[6:7], v[2:3]
	v_div_fixup_f64 v[10:11], v[10:11], v[8:9], 1.0
	s_delay_alu instid0(VALU_DEP_1) | instskip(NEXT) | instid1(VALU_DEP_3)
	v_mul_f64_e32 v[8:9], v[12:13], v[10:11]
	v_mul_f64_e32 v[6:7], v[0:1], v[10:11]
.LBB5_17:
	s_wait_loadcnt 0x0
	s_delay_alu instid0(VALU_DEP_2) | instskip(NEXT) | instid1(VALU_DEP_2)
	v_mov_b64_e32 v[0:1], v[8:9]
	v_mov_b64_e32 v[2:3], v[6:7]
.LBB5_18:
	s_or_b32 exec_lo, exec_lo, s6
	s_wait_loadcnt 0x0
	global_store_b128 v[4:5], v[0:3], off
.LBB5_19:
	s_endpgm
	.section	.rodata,"a",@progbits
	.p2align	6, 0x0
	.amdhsa_kernel _ZN9rocsolver6v33100L41conj_nonunit_backward_substitution_kernelI19rocblas_complex_numIdEiPS3_EEvT0_S5_T1_S5_S5_llS6_S5_S5_ll
		.amdhsa_group_segment_fixed_size 0
		.amdhsa_private_segment_fixed_size 0
		.amdhsa_kernarg_size 328
		.amdhsa_user_sgpr_count 2
		.amdhsa_user_sgpr_dispatch_ptr 0
		.amdhsa_user_sgpr_queue_ptr 0
		.amdhsa_user_sgpr_kernarg_segment_ptr 1
		.amdhsa_user_sgpr_dispatch_id 0
		.amdhsa_user_sgpr_kernarg_preload_length 0
		.amdhsa_user_sgpr_kernarg_preload_offset 0
		.amdhsa_user_sgpr_private_segment_size 0
		.amdhsa_wavefront_size32 1
		.amdhsa_uses_dynamic_stack 0
		.amdhsa_enable_private_segment 0
		.amdhsa_system_sgpr_workgroup_id_x 1
		.amdhsa_system_sgpr_workgroup_id_y 1
		.amdhsa_system_sgpr_workgroup_id_z 1
		.amdhsa_system_sgpr_workgroup_info 0
		.amdhsa_system_vgpr_workitem_id 1
		.amdhsa_next_free_vgpr 24
		.amdhsa_next_free_sgpr 16
		.amdhsa_named_barrier_count 0
		.amdhsa_reserve_vcc 1
		.amdhsa_float_round_mode_32 0
		.amdhsa_float_round_mode_16_64 0
		.amdhsa_float_denorm_mode_32 3
		.amdhsa_float_denorm_mode_16_64 3
		.amdhsa_fp16_overflow 0
		.amdhsa_memory_ordered 1
		.amdhsa_forward_progress 1
		.amdhsa_inst_pref_size 13
		.amdhsa_round_robin_scheduling 0
		.amdhsa_exception_fp_ieee_invalid_op 0
		.amdhsa_exception_fp_denorm_src 0
		.amdhsa_exception_fp_ieee_div_zero 0
		.amdhsa_exception_fp_ieee_overflow 0
		.amdhsa_exception_fp_ieee_underflow 0
		.amdhsa_exception_fp_ieee_inexact 0
		.amdhsa_exception_int_div_zero 0
	.end_amdhsa_kernel
	.section	.text._ZN9rocsolver6v33100L41conj_nonunit_backward_substitution_kernelI19rocblas_complex_numIdEiPS3_EEvT0_S5_T1_S5_S5_llS6_S5_S5_ll,"axG",@progbits,_ZN9rocsolver6v33100L41conj_nonunit_backward_substitution_kernelI19rocblas_complex_numIdEiPS3_EEvT0_S5_T1_S5_S5_llS6_S5_S5_ll,comdat
.Lfunc_end5:
	.size	_ZN9rocsolver6v33100L41conj_nonunit_backward_substitution_kernelI19rocblas_complex_numIdEiPS3_EEvT0_S5_T1_S5_S5_llS6_S5_S5_ll, .Lfunc_end5-_ZN9rocsolver6v33100L41conj_nonunit_backward_substitution_kernelI19rocblas_complex_numIdEiPS3_EEvT0_S5_T1_S5_S5_llS6_S5_S5_ll
                                        ; -- End function
	.set _ZN9rocsolver6v33100L41conj_nonunit_backward_substitution_kernelI19rocblas_complex_numIdEiPS3_EEvT0_S5_T1_S5_S5_llS6_S5_S5_ll.num_vgpr, 24
	.set _ZN9rocsolver6v33100L41conj_nonunit_backward_substitution_kernelI19rocblas_complex_numIdEiPS3_EEvT0_S5_T1_S5_S5_llS6_S5_S5_ll.num_agpr, 0
	.set _ZN9rocsolver6v33100L41conj_nonunit_backward_substitution_kernelI19rocblas_complex_numIdEiPS3_EEvT0_S5_T1_S5_S5_llS6_S5_S5_ll.numbered_sgpr, 16
	.set _ZN9rocsolver6v33100L41conj_nonunit_backward_substitution_kernelI19rocblas_complex_numIdEiPS3_EEvT0_S5_T1_S5_S5_llS6_S5_S5_ll.num_named_barrier, 0
	.set _ZN9rocsolver6v33100L41conj_nonunit_backward_substitution_kernelI19rocblas_complex_numIdEiPS3_EEvT0_S5_T1_S5_S5_llS6_S5_S5_ll.private_seg_size, 0
	.set _ZN9rocsolver6v33100L41conj_nonunit_backward_substitution_kernelI19rocblas_complex_numIdEiPS3_EEvT0_S5_T1_S5_S5_llS6_S5_S5_ll.uses_vcc, 1
	.set _ZN9rocsolver6v33100L41conj_nonunit_backward_substitution_kernelI19rocblas_complex_numIdEiPS3_EEvT0_S5_T1_S5_S5_llS6_S5_S5_ll.uses_flat_scratch, 0
	.set _ZN9rocsolver6v33100L41conj_nonunit_backward_substitution_kernelI19rocblas_complex_numIdEiPS3_EEvT0_S5_T1_S5_S5_llS6_S5_S5_ll.has_dyn_sized_stack, 0
	.set _ZN9rocsolver6v33100L41conj_nonunit_backward_substitution_kernelI19rocblas_complex_numIdEiPS3_EEvT0_S5_T1_S5_S5_llS6_S5_S5_ll.has_recursion, 0
	.set _ZN9rocsolver6v33100L41conj_nonunit_backward_substitution_kernelI19rocblas_complex_numIdEiPS3_EEvT0_S5_T1_S5_S5_llS6_S5_S5_ll.has_indirect_call, 0
	.section	.AMDGPU.csdata,"",@progbits
; Kernel info:
; codeLenInByte = 1624
; TotalNumSgprs: 18
; NumVgprs: 24
; ScratchSize: 0
; MemoryBound: 1
; FloatMode: 240
; IeeeMode: 1
; LDSByteSize: 0 bytes/workgroup (compile time only)
; SGPRBlocks: 0
; VGPRBlocks: 1
; NumSGPRsForWavesPerEU: 18
; NumVGPRsForWavesPerEU: 24
; NamedBarCnt: 0
; Occupancy: 16
; WaveLimiterHint : 0
; COMPUTE_PGM_RSRC2:SCRATCH_EN: 0
; COMPUTE_PGM_RSRC2:USER_SGPR: 2
; COMPUTE_PGM_RSRC2:TRAP_HANDLER: 0
; COMPUTE_PGM_RSRC2:TGID_X_EN: 1
; COMPUTE_PGM_RSRC2:TGID_Y_EN: 1
; COMPUTE_PGM_RSRC2:TGID_Z_EN: 1
; COMPUTE_PGM_RSRC2:TIDIG_COMP_CNT: 1
	.section	.text._ZN9rocsolver6v33100L33unit_backward_substitution_kernelI19rocblas_complex_numIdEiPS3_EEvT0_S5_T1_S5_S5_llS6_S5_S5_ll,"axG",@progbits,_ZN9rocsolver6v33100L33unit_backward_substitution_kernelI19rocblas_complex_numIdEiPS3_EEvT0_S5_T1_S5_S5_llS6_S5_S5_ll,comdat
	.globl	_ZN9rocsolver6v33100L33unit_backward_substitution_kernelI19rocblas_complex_numIdEiPS3_EEvT0_S5_T1_S5_S5_llS6_S5_S5_ll ; -- Begin function _ZN9rocsolver6v33100L33unit_backward_substitution_kernelI19rocblas_complex_numIdEiPS3_EEvT0_S5_T1_S5_S5_llS6_S5_S5_ll
	.p2align	8
	.type	_ZN9rocsolver6v33100L33unit_backward_substitution_kernelI19rocblas_complex_numIdEiPS3_EEvT0_S5_T1_S5_S5_llS6_S5_S5_ll,@function
_ZN9rocsolver6v33100L33unit_backward_substitution_kernelI19rocblas_complex_numIdEiPS3_EEvT0_S5_T1_S5_S5_llS6_S5_S5_ll: ; @_ZN9rocsolver6v33100L33unit_backward_substitution_kernelI19rocblas_complex_numIdEiPS3_EEvT0_S5_T1_S5_S5_llS6_S5_S5_ll
; %bb.0:
	s_clause 0x1
	s_load_u16 s3, s[0:1], 0x56
	s_load_b64 s[12:13], s[0:1], 0x0
	s_bfe_u32 s2, ttmp6, 0x40010
	s_and_b32 s4, ttmp7, 0xffff
	s_add_co_i32 s2, s2, 1
	s_bfe_u32 s6, ttmp6, 0x40004
	s_mul_i32 s5, s4, s2
	s_getreg_b32 s2, hwreg(HW_REG_IB_STS2, 6, 4)
	v_bfe_u32 v6, v0, 10, 10
	s_add_co_i32 s6, s6, s5
	s_cmp_eq_u32 s2, 0
	s_mov_b32 s15, 0
	s_cselect_b32 s4, s4, s6
	s_wait_kmcnt 0x0
	v_mad_u32 v1, s4, s3, v6
	s_mov_b32 s3, exec_lo
	s_delay_alu instid0(VALU_DEP_1)
	v_cmpx_gt_i32_e64 s13, v1
	s_cbranch_execz .LBB6_9
; %bb.1:
	s_load_b256 s[4:11], s[0:1], 0x28
	v_and_b32_e32 v10, 0x3ff, v0
	s_bfe_u32 s3, ttmp6, 0x40014
	s_bfe_u32 s13, ttmp6, 0x40008
	s_add_co_i32 s3, s3, 1
	s_wait_kmcnt 0x0
	v_mul_lo_u32 v0, s6, v10
	s_lshr_b32 s6, ttmp7, 16
	s_delay_alu instid0(SALU_CYCLE_1) | instskip(NEXT) | instid1(SALU_CYCLE_1)
	s_mul_i32 s3, s6, s3
	s_add_co_i32 s13, s13, s3
	s_cmp_eq_u32 s2, 0
	s_cselect_b32 s14, s6, s13
	s_delay_alu instid0(SALU_CYCLE_1) | instskip(NEXT) | instid1(VALU_DEP_1)
	s_mul_u64 s[2:3], s[10:11], s[14:15]
	v_mad_u32 v4, v1, s7, v0
	s_lshl_b64 s[2:3], s[2:3], 4
	s_delay_alu instid0(SALU_CYCLE_1)
	s_add_nc_u64 s[2:3], s[4:5], s[2:3]
	s_lshl_b64 s[4:5], s[8:9], 4
	s_cmp_lt_i32 s12, 2
	s_add_nc_u64 s[2:3], s[2:3], s[4:5]
	global_load_b128 v[0:3], v4, s[2:3] scale_offset
	v_ashrrev_i32_e32 v5, 31, v4
	s_cbranch_scc1 .LBB6_8
; %bb.2:
	s_load_b256 s[4:11], s[0:1], 0x8
	s_add_co_i32 s12, s12, -1
	v_lshl_add_u32 v12, v6, 4, 0
	s_wait_kmcnt 0x0
	s_mul_i32 s0, s7, s12
	s_delay_alu instid0(SALU_CYCLE_1) | instskip(SKIP_1) | instid1(SALU_CYCLE_1)
	v_mad_u32 v11, s6, v10, s0
	s_mul_u64 s[0:1], s[10:11], s[14:15]
	s_lshl_b64 s[0:1], s[0:1], 4
	s_delay_alu instid0(SALU_CYCLE_1) | instskip(SKIP_1) | instid1(SALU_CYCLE_1)
	s_add_nc_u64 s[0:1], s[4:5], s[0:1]
	s_lshl_b64 s[4:5], s[8:9], 4
	s_add_nc_u64 s[0:1], s[0:1], s[4:5]
	s_branch .LBB6_4
.LBB6_3:                                ;   in Loop: Header=BB6_4 Depth=1
	s_or_b32 exec_lo, exec_lo, s4
	s_delay_alu instid0(VALU_DEP_2) | instskip(NEXT) | instid1(VALU_DEP_2)
	v_add_f64_e64 v[0:1], v[0:1], -v[8:9]
	v_add_f64_e64 v[2:3], v[2:3], -v[6:7]
	v_subrev_nc_u32_e32 v11, s7, v11
	s_add_co_i32 s4, s12, 1
	s_add_co_i32 s12, s12, -1
	s_cmp_lt_u32 s4, 3
	s_cbranch_scc1 .LBB6_8
.LBB6_4:                                ; =>This Inner Loop Header: Depth=1
	s_mov_b32 s4, exec_lo
	s_wait_loadcnt 0x0
	s_barrier_signal -1
	s_barrier_wait -1
	v_cmpx_eq_u32_e64 s12, v10
; %bb.5:                                ;   in Loop: Header=BB6_4 Depth=1
	ds_store_2addr_b64 v12, v[0:1], v[2:3] offset1:1
; %bb.6:                                ;   in Loop: Header=BB6_4 Depth=1
	s_or_b32 exec_lo, exec_lo, s4
	v_mov_b64_e32 v[6:7], 0
	v_mov_b64_e32 v[8:9], 0
	s_mov_b32 s4, exec_lo
	s_wait_dscnt 0x0
	s_barrier_signal -1
	s_barrier_wait -1
	v_cmpx_gt_i32_e64 s12, v10
	s_cbranch_execz .LBB6_3
; %bb.7:                                ;   in Loop: Header=BB6_4 Depth=1
	global_load_b128 v[14:17], v11, s[0:1] scale_offset
	ds_load_2addr_b64 v[18:21], v12 offset1:1
	s_wait_loadcnt_dscnt 0x0
	v_mul_f64_e32 v[8:9], v[20:21], v[16:17]
	v_mul_f64_e32 v[6:7], v[18:19], v[16:17]
	s_delay_alu instid0(VALU_DEP_2) | instskip(NEXT) | instid1(VALU_DEP_2)
	v_fma_f64 v[8:9], v[18:19], v[14:15], -v[8:9]
	v_fmac_f64_e32 v[6:7], v[20:21], v[14:15]
	s_branch .LBB6_3
.LBB6_8:
	s_wait_xcnt 0x0
	s_delay_alu instid0(VALU_DEP_1)
	v_lshl_add_u64 v[4:5], v[4:5], 4, s[2:3]
	s_wait_loadcnt 0x0
	global_store_b128 v[4:5], v[0:3], off
.LBB6_9:
	s_endpgm
	.section	.rodata,"a",@progbits
	.p2align	6, 0x0
	.amdhsa_kernel _ZN9rocsolver6v33100L33unit_backward_substitution_kernelI19rocblas_complex_numIdEiPS3_EEvT0_S5_T1_S5_S5_llS6_S5_S5_ll
		.amdhsa_group_segment_fixed_size 0
		.amdhsa_private_segment_fixed_size 0
		.amdhsa_kernarg_size 328
		.amdhsa_user_sgpr_count 2
		.amdhsa_user_sgpr_dispatch_ptr 0
		.amdhsa_user_sgpr_queue_ptr 0
		.amdhsa_user_sgpr_kernarg_segment_ptr 1
		.amdhsa_user_sgpr_dispatch_id 0
		.amdhsa_user_sgpr_kernarg_preload_length 0
		.amdhsa_user_sgpr_kernarg_preload_offset 0
		.amdhsa_user_sgpr_private_segment_size 0
		.amdhsa_wavefront_size32 1
		.amdhsa_uses_dynamic_stack 0
		.amdhsa_enable_private_segment 0
		.amdhsa_system_sgpr_workgroup_id_x 1
		.amdhsa_system_sgpr_workgroup_id_y 1
		.amdhsa_system_sgpr_workgroup_id_z 1
		.amdhsa_system_sgpr_workgroup_info 0
		.amdhsa_system_vgpr_workitem_id 1
		.amdhsa_next_free_vgpr 22
		.amdhsa_next_free_sgpr 16
		.amdhsa_named_barrier_count 0
		.amdhsa_reserve_vcc 0
		.amdhsa_float_round_mode_32 0
		.amdhsa_float_round_mode_16_64 0
		.amdhsa_float_denorm_mode_32 3
		.amdhsa_float_denorm_mode_16_64 3
		.amdhsa_fp16_overflow 0
		.amdhsa_memory_ordered 1
		.amdhsa_forward_progress 1
		.amdhsa_inst_pref_size 5
		.amdhsa_round_robin_scheduling 0
		.amdhsa_exception_fp_ieee_invalid_op 0
		.amdhsa_exception_fp_denorm_src 0
		.amdhsa_exception_fp_ieee_div_zero 0
		.amdhsa_exception_fp_ieee_overflow 0
		.amdhsa_exception_fp_ieee_underflow 0
		.amdhsa_exception_fp_ieee_inexact 0
		.amdhsa_exception_int_div_zero 0
	.end_amdhsa_kernel
	.section	.text._ZN9rocsolver6v33100L33unit_backward_substitution_kernelI19rocblas_complex_numIdEiPS3_EEvT0_S5_T1_S5_S5_llS6_S5_S5_ll,"axG",@progbits,_ZN9rocsolver6v33100L33unit_backward_substitution_kernelI19rocblas_complex_numIdEiPS3_EEvT0_S5_T1_S5_S5_llS6_S5_S5_ll,comdat
.Lfunc_end6:
	.size	_ZN9rocsolver6v33100L33unit_backward_substitution_kernelI19rocblas_complex_numIdEiPS3_EEvT0_S5_T1_S5_S5_llS6_S5_S5_ll, .Lfunc_end6-_ZN9rocsolver6v33100L33unit_backward_substitution_kernelI19rocblas_complex_numIdEiPS3_EEvT0_S5_T1_S5_S5_llS6_S5_S5_ll
                                        ; -- End function
	.set _ZN9rocsolver6v33100L33unit_backward_substitution_kernelI19rocblas_complex_numIdEiPS3_EEvT0_S5_T1_S5_S5_llS6_S5_S5_ll.num_vgpr, 22
	.set _ZN9rocsolver6v33100L33unit_backward_substitution_kernelI19rocblas_complex_numIdEiPS3_EEvT0_S5_T1_S5_S5_llS6_S5_S5_ll.num_agpr, 0
	.set _ZN9rocsolver6v33100L33unit_backward_substitution_kernelI19rocblas_complex_numIdEiPS3_EEvT0_S5_T1_S5_S5_llS6_S5_S5_ll.numbered_sgpr, 16
	.set _ZN9rocsolver6v33100L33unit_backward_substitution_kernelI19rocblas_complex_numIdEiPS3_EEvT0_S5_T1_S5_S5_llS6_S5_S5_ll.num_named_barrier, 0
	.set _ZN9rocsolver6v33100L33unit_backward_substitution_kernelI19rocblas_complex_numIdEiPS3_EEvT0_S5_T1_S5_S5_llS6_S5_S5_ll.private_seg_size, 0
	.set _ZN9rocsolver6v33100L33unit_backward_substitution_kernelI19rocblas_complex_numIdEiPS3_EEvT0_S5_T1_S5_S5_llS6_S5_S5_ll.uses_vcc, 0
	.set _ZN9rocsolver6v33100L33unit_backward_substitution_kernelI19rocblas_complex_numIdEiPS3_EEvT0_S5_T1_S5_S5_llS6_S5_S5_ll.uses_flat_scratch, 0
	.set _ZN9rocsolver6v33100L33unit_backward_substitution_kernelI19rocblas_complex_numIdEiPS3_EEvT0_S5_T1_S5_S5_llS6_S5_S5_ll.has_dyn_sized_stack, 0
	.set _ZN9rocsolver6v33100L33unit_backward_substitution_kernelI19rocblas_complex_numIdEiPS3_EEvT0_S5_T1_S5_S5_llS6_S5_S5_ll.has_recursion, 0
	.set _ZN9rocsolver6v33100L33unit_backward_substitution_kernelI19rocblas_complex_numIdEiPS3_EEvT0_S5_T1_S5_S5_llS6_S5_S5_ll.has_indirect_call, 0
	.section	.AMDGPU.csdata,"",@progbits
; Kernel info:
; codeLenInByte = 516
; TotalNumSgprs: 16
; NumVgprs: 22
; ScratchSize: 0
; MemoryBound: 0
; FloatMode: 240
; IeeeMode: 1
; LDSByteSize: 0 bytes/workgroup (compile time only)
; SGPRBlocks: 0
; VGPRBlocks: 1
; NumSGPRsForWavesPerEU: 16
; NumVGPRsForWavesPerEU: 22
; NamedBarCnt: 0
; Occupancy: 16
; WaveLimiterHint : 0
; COMPUTE_PGM_RSRC2:SCRATCH_EN: 0
; COMPUTE_PGM_RSRC2:USER_SGPR: 2
; COMPUTE_PGM_RSRC2:TRAP_HANDLER: 0
; COMPUTE_PGM_RSRC2:TGID_X_EN: 1
; COMPUTE_PGM_RSRC2:TGID_Y_EN: 1
; COMPUTE_PGM_RSRC2:TGID_Z_EN: 1
; COMPUTE_PGM_RSRC2:TIDIG_COMP_CNT: 1
	.section	.text._ZN9rocsolver6v33100L36nonunit_backward_substitution_kernelI19rocblas_complex_numIdEiPS3_EEvT0_S5_T1_S5_S5_llS6_S5_S5_ll,"axG",@progbits,_ZN9rocsolver6v33100L36nonunit_backward_substitution_kernelI19rocblas_complex_numIdEiPS3_EEvT0_S5_T1_S5_S5_llS6_S5_S5_ll,comdat
	.globl	_ZN9rocsolver6v33100L36nonunit_backward_substitution_kernelI19rocblas_complex_numIdEiPS3_EEvT0_S5_T1_S5_S5_llS6_S5_S5_ll ; -- Begin function _ZN9rocsolver6v33100L36nonunit_backward_substitution_kernelI19rocblas_complex_numIdEiPS3_EEvT0_S5_T1_S5_S5_llS6_S5_S5_ll
	.p2align	8
	.type	_ZN9rocsolver6v33100L36nonunit_backward_substitution_kernelI19rocblas_complex_numIdEiPS3_EEvT0_S5_T1_S5_S5_llS6_S5_S5_ll,@function
_ZN9rocsolver6v33100L36nonunit_backward_substitution_kernelI19rocblas_complex_numIdEiPS3_EEvT0_S5_T1_S5_S5_llS6_S5_S5_ll: ; @_ZN9rocsolver6v33100L36nonunit_backward_substitution_kernelI19rocblas_complex_numIdEiPS3_EEvT0_S5_T1_S5_S5_llS6_S5_S5_ll
; %bb.0:
	s_clause 0x1
	s_load_u16 s3, s[0:1], 0x56
	s_load_b64 s[12:13], s[0:1], 0x0
	s_bfe_u32 s2, ttmp6, 0x40010
	s_and_b32 s4, ttmp7, 0xffff
	s_add_co_i32 s2, s2, 1
	s_bfe_u32 s6, ttmp6, 0x40004
	s_mul_i32 s5, s4, s2
	s_getreg_b32 s2, hwreg(HW_REG_IB_STS2, 6, 4)
	v_bfe_u32 v4, v0, 10, 10
	s_add_co_i32 s6, s6, s5
	s_cmp_eq_u32 s2, 0
	s_mov_b32 s15, 0
	s_cselect_b32 s4, s4, s6
	s_wait_kmcnt 0x0
	v_mad_u32 v1, s4, s3, v4
	s_mov_b32 s3, exec_lo
	s_delay_alu instid0(VALU_DEP_1)
	v_cmpx_gt_i32_e64 s13, v1
	s_cbranch_execz .LBB7_19
; %bb.1:
	s_load_b256 s[4:11], s[0:1], 0x28
	v_and_b32_e32 v12, 0x3ff, v0
	s_bfe_u32 s3, ttmp6, 0x40014
	s_bfe_u32 s13, ttmp6, 0x40008
	s_add_co_i32 s3, s3, 1
	s_wait_kmcnt 0x0
	v_mul_lo_u32 v0, s6, v12
	s_lshr_b32 s6, ttmp7, 16
	s_delay_alu instid0(SALU_CYCLE_1) | instskip(NEXT) | instid1(SALU_CYCLE_1)
	s_mul_i32 s3, s6, s3
	s_add_co_i32 s13, s13, s3
	s_cmp_eq_u32 s2, 0
	s_cselect_b32 s14, s6, s13
	s_delay_alu instid0(SALU_CYCLE_1) | instskip(NEXT) | instid1(VALU_DEP_1)
	s_mul_u64 s[2:3], s[10:11], s[14:15]
	v_mad_u32 v8, v1, s7, v0
	s_lshl_b64 s[2:3], s[2:3], 4
	s_delay_alu instid0(SALU_CYCLE_1) | instskip(SKIP_1) | instid1(SALU_CYCLE_1)
	s_add_nc_u64 s[2:3], s[4:5], s[2:3]
	s_lshl_b64 s[4:5], s[8:9], 4
	s_add_nc_u64 s[2:3], s[2:3], s[4:5]
	global_load_b128 v[0:3], v8, s[2:3] scale_offset
	s_clause 0x1
	s_load_b128 s[4:7], s[0:1], 0x18
	s_load_b64 s[8:9], s[0:1], 0x8
	v_ashrrev_i32_e32 v9, 31, v8
	s_wait_kmcnt 0x0
	s_mul_u64 s[6:7], s[6:7], s[14:15]
	s_lshl_b64 s[4:5], s[4:5], 4
	s_lshl_b64 s[6:7], s[6:7], 4
	s_cmp_lt_i32 s12, 2
	s_add_nc_u64 s[6:7], s[8:9], s[6:7]
	s_delay_alu instid0(SALU_CYCLE_1)
	s_add_nc_u64 s[4:5], s[6:7], s[4:5]
	s_cbranch_scc1 .LBB7_12
; %bb.2:
	s_load_b64 s[0:1], s[0:1], 0x10
	v_lshl_add_u32 v14, v4, 4, 0
	s_wait_kmcnt 0x0
	s_add_co_i32 s6, s1, s0
	s_delay_alu instid0(SALU_CYCLE_1) | instskip(SKIP_1) | instid1(SALU_CYCLE_1)
	v_mul_lo_u32 v6, s6, v12
	s_add_co_i32 s6, s12, -1
	s_mul_i32 s7, s1, s6
	s_delay_alu instid0(SALU_CYCLE_1) | instskip(NEXT) | instid1(VALU_DEP_2)
	v_mad_u32 v13, s0, v12, s7
	v_ashrrev_i32_e32 v7, 31, v6
	s_delay_alu instid0(VALU_DEP_1)
	v_lshl_add_u64 v[10:11], v[6:7], 4, s[4:5]
	s_branch .LBB7_4
.LBB7_3:                                ;   in Loop: Header=BB7_4 Depth=1
	s_or_b32 exec_lo, exec_lo, s0
	s_delay_alu instid0(VALU_DEP_2) | instskip(NEXT) | instid1(VALU_DEP_2)
	v_add_f64_e64 v[0:1], v[0:1], -v[6:7]
	v_add_f64_e64 v[2:3], v[2:3], -v[4:5]
	v_subrev_nc_u32_e32 v13, s1, v13
	s_add_co_i32 s0, s6, 1
	s_add_co_i32 s6, s6, -1
	s_cmp_lt_u32 s0, 3
	s_cbranch_scc1 .LBB7_12
.LBB7_4:                                ; =>This Inner Loop Header: Depth=1
	s_mov_b32 s0, exec_lo
	s_wait_loadcnt 0x0
	s_barrier_signal -1
	s_barrier_wait -1
	v_cmpx_eq_u32_e64 s6, v12
	s_cbranch_execz .LBB7_10
; %bb.5:                                ;   in Loop: Header=BB7_4 Depth=1
	global_load_b128 v[4:7], v[10:11], off
	s_wait_loadcnt 0x0
	v_cmp_ngt_f64_e64 s7, |v[4:5]|, |v[6:7]|
	s_and_saveexec_b32 s8, s7
	s_delay_alu instid0(SALU_CYCLE_1)
	s_xor_b32 s7, exec_lo, s8
	s_cbranch_execz .LBB7_7
; %bb.6:                                ;   in Loop: Header=BB7_4 Depth=1
	v_div_scale_f64 v[16:17], null, v[6:7], v[6:7], v[4:5]
	v_div_scale_f64 v[22:23], vcc_lo, v[4:5], v[6:7], v[4:5]
	s_delay_alu instid0(VALU_DEP_2) | instskip(SKIP_1) | instid1(TRANS32_DEP_1)
	v_rcp_f64_e32 v[18:19], v[16:17]
	v_nop
	v_fma_f64 v[20:21], -v[16:17], v[18:19], 1.0
	s_delay_alu instid0(VALU_DEP_1) | instskip(NEXT) | instid1(VALU_DEP_1)
	v_fmac_f64_e32 v[18:19], v[18:19], v[20:21]
	v_fma_f64 v[20:21], -v[16:17], v[18:19], 1.0
	s_delay_alu instid0(VALU_DEP_1) | instskip(NEXT) | instid1(VALU_DEP_1)
	v_fmac_f64_e32 v[18:19], v[18:19], v[20:21]
	v_mul_f64_e32 v[20:21], v[22:23], v[18:19]
	s_delay_alu instid0(VALU_DEP_1) | instskip(NEXT) | instid1(VALU_DEP_1)
	v_fma_f64 v[16:17], -v[16:17], v[20:21], v[22:23]
	v_div_fmas_f64 v[16:17], v[16:17], v[18:19], v[20:21]
	s_delay_alu instid0(VALU_DEP_1) | instskip(NEXT) | instid1(VALU_DEP_1)
	v_div_fixup_f64 v[16:17], v[16:17], v[6:7], v[4:5]
	v_fmac_f64_e32 v[6:7], v[4:5], v[16:17]
	s_delay_alu instid0(VALU_DEP_1) | instskip(SKIP_1) | instid1(VALU_DEP_2)
	v_div_scale_f64 v[4:5], null, v[6:7], v[6:7], 1.0
	v_div_scale_f64 v[22:23], vcc_lo, 1.0, v[6:7], 1.0
	v_rcp_f64_e32 v[18:19], v[4:5]
	v_nop
	s_delay_alu instid0(TRANS32_DEP_1) | instskip(NEXT) | instid1(VALU_DEP_1)
	v_fma_f64 v[20:21], -v[4:5], v[18:19], 1.0
	v_fmac_f64_e32 v[18:19], v[18:19], v[20:21]
	s_delay_alu instid0(VALU_DEP_1) | instskip(NEXT) | instid1(VALU_DEP_1)
	v_fma_f64 v[20:21], -v[4:5], v[18:19], 1.0
	v_fmac_f64_e32 v[18:19], v[18:19], v[20:21]
	s_delay_alu instid0(VALU_DEP_1) | instskip(NEXT) | instid1(VALU_DEP_1)
	v_mul_f64_e32 v[20:21], v[22:23], v[18:19]
	v_fma_f64 v[4:5], -v[4:5], v[20:21], v[22:23]
	s_delay_alu instid0(VALU_DEP_1) | instskip(NEXT) | instid1(VALU_DEP_1)
	v_div_fmas_f64 v[4:5], v[4:5], v[18:19], v[20:21]
	v_div_fixup_f64 v[4:5], v[4:5], v[6:7], 1.0
	v_fma_f64 v[6:7], v[0:1], v[16:17], v[2:3]
	v_fma_f64 v[0:1], v[2:3], v[16:17], -v[0:1]
	s_delay_alu instid0(VALU_DEP_2) | instskip(NEXT) | instid1(VALU_DEP_2)
	v_mul_f64_e32 v[6:7], v[6:7], v[4:5]
	v_mul_f64_e32 v[2:3], v[0:1], v[4:5]
	s_delay_alu instid0(VALU_DEP_2)
	v_mov_b64_e32 v[0:1], v[6:7]
                                        ; implicit-def: $vgpr4_vgpr5
.LBB7_7:                                ;   in Loop: Header=BB7_4 Depth=1
	s_and_not1_saveexec_b32 s7, s7
	s_cbranch_execz .LBB7_9
; %bb.8:                                ;   in Loop: Header=BB7_4 Depth=1
	v_div_scale_f64 v[16:17], null, v[4:5], v[4:5], v[6:7]
	v_div_scale_f64 v[22:23], vcc_lo, v[6:7], v[4:5], v[6:7]
	s_delay_alu instid0(VALU_DEP_2) | instskip(SKIP_1) | instid1(TRANS32_DEP_1)
	v_rcp_f64_e32 v[18:19], v[16:17]
	v_nop
	v_fma_f64 v[20:21], -v[16:17], v[18:19], 1.0
	s_delay_alu instid0(VALU_DEP_1) | instskip(NEXT) | instid1(VALU_DEP_1)
	v_fmac_f64_e32 v[18:19], v[18:19], v[20:21]
	v_fma_f64 v[20:21], -v[16:17], v[18:19], 1.0
	s_delay_alu instid0(VALU_DEP_1) | instskip(NEXT) | instid1(VALU_DEP_1)
	v_fmac_f64_e32 v[18:19], v[18:19], v[20:21]
	v_mul_f64_e32 v[20:21], v[22:23], v[18:19]
	s_delay_alu instid0(VALU_DEP_1) | instskip(NEXT) | instid1(VALU_DEP_1)
	v_fma_f64 v[16:17], -v[16:17], v[20:21], v[22:23]
	v_div_fmas_f64 v[16:17], v[16:17], v[18:19], v[20:21]
	s_delay_alu instid0(VALU_DEP_1) | instskip(NEXT) | instid1(VALU_DEP_1)
	v_div_fixup_f64 v[16:17], v[16:17], v[4:5], v[6:7]
	v_fmac_f64_e32 v[4:5], v[6:7], v[16:17]
	s_delay_alu instid0(VALU_DEP_1) | instskip(SKIP_1) | instid1(VALU_DEP_2)
	v_div_scale_f64 v[6:7], null, v[4:5], v[4:5], 1.0
	v_div_scale_f64 v[22:23], vcc_lo, 1.0, v[4:5], 1.0
	v_rcp_f64_e32 v[18:19], v[6:7]
	v_nop
	s_delay_alu instid0(TRANS32_DEP_1) | instskip(NEXT) | instid1(VALU_DEP_1)
	v_fma_f64 v[20:21], -v[6:7], v[18:19], 1.0
	v_fmac_f64_e32 v[18:19], v[18:19], v[20:21]
	s_delay_alu instid0(VALU_DEP_1) | instskip(NEXT) | instid1(VALU_DEP_1)
	v_fma_f64 v[20:21], -v[6:7], v[18:19], 1.0
	v_fmac_f64_e32 v[18:19], v[18:19], v[20:21]
	s_delay_alu instid0(VALU_DEP_1) | instskip(NEXT) | instid1(VALU_DEP_1)
	v_mul_f64_e32 v[20:21], v[22:23], v[18:19]
	v_fma_f64 v[6:7], -v[6:7], v[20:21], v[22:23]
	s_delay_alu instid0(VALU_DEP_1) | instskip(NEXT) | instid1(VALU_DEP_1)
	v_div_fmas_f64 v[6:7], v[6:7], v[18:19], v[20:21]
	v_div_fixup_f64 v[4:5], v[6:7], v[4:5], 1.0
	v_fma_f64 v[6:7], v[2:3], v[16:17], v[0:1]
	v_fma_f64 v[0:1], -v[0:1], v[16:17], v[2:3]
	s_delay_alu instid0(VALU_DEP_2) | instskip(NEXT) | instid1(VALU_DEP_2)
	v_mul_f64_e32 v[6:7], v[6:7], v[4:5]
	v_mul_f64_e32 v[2:3], v[0:1], v[4:5]
	s_delay_alu instid0(VALU_DEP_2)
	v_mov_b64_e32 v[0:1], v[6:7]
.LBB7_9:                                ;   in Loop: Header=BB7_4 Depth=1
	s_or_b32 exec_lo, exec_lo, s7
	ds_store_2addr_b64 v14, v[0:1], v[2:3] offset1:1
.LBB7_10:                               ;   in Loop: Header=BB7_4 Depth=1
	s_or_b32 exec_lo, exec_lo, s0
	v_mov_b64_e32 v[4:5], 0
	v_mov_b64_e32 v[6:7], 0
	s_mov_b32 s0, exec_lo
	s_wait_dscnt 0x0
	s_barrier_signal -1
	s_barrier_wait -1
	v_cmpx_gt_i32_e64 s6, v12
	s_cbranch_execz .LBB7_3
; %bb.11:                               ;   in Loop: Header=BB7_4 Depth=1
	global_load_b128 v[16:19], v13, s[4:5] scale_offset
	ds_load_2addr_b64 v[20:23], v14 offset1:1
	s_wait_loadcnt_dscnt 0x0
	v_mul_f64_e32 v[6:7], v[22:23], v[18:19]
	v_mul_f64_e32 v[4:5], v[20:21], v[18:19]
	s_delay_alu instid0(VALU_DEP_2) | instskip(NEXT) | instid1(VALU_DEP_2)
	v_fma_f64 v[6:7], v[20:21], v[16:17], -v[6:7]
	v_fmac_f64_e32 v[4:5], v[22:23], v[16:17]
	s_branch .LBB7_3
.LBB7_12:
	v_lshl_add_u64 v[4:5], v[8:9], 4, s[2:3]
	s_mov_b32 s6, exec_lo
	v_cmpx_eq_u32_e32 0, v12
	s_cbranch_execz .LBB7_18
; %bb.13:
	s_load_b128 s[0:3], s[4:5], 0x0
	s_wait_kmcnt 0x0
	v_cmp_ngt_f64_e64 s4, |s[0:1]|, |s[2:3]|
	s_and_b32 vcc_lo, exec_lo, s4
	s_cbranch_vccz .LBB7_15
; %bb.14:
	v_div_scale_f64 v[6:7], null, s[2:3], s[2:3], s[0:1]
	v_div_scale_f64 v[12:13], vcc_lo, s[0:1], s[2:3], s[0:1]
	s_delay_alu instid0(VALU_DEP_2) | instskip(SKIP_1) | instid1(TRANS32_DEP_1)
	v_rcp_f64_e32 v[8:9], v[6:7]
	v_nop
	v_fma_f64 v[10:11], -v[6:7], v[8:9], 1.0
	s_delay_alu instid0(VALU_DEP_1) | instskip(NEXT) | instid1(VALU_DEP_1)
	v_fmac_f64_e32 v[8:9], v[8:9], v[10:11]
	v_fma_f64 v[10:11], -v[6:7], v[8:9], 1.0
	s_delay_alu instid0(VALU_DEP_1) | instskip(NEXT) | instid1(VALU_DEP_1)
	v_fmac_f64_e32 v[8:9], v[8:9], v[10:11]
	v_mul_f64_e32 v[10:11], v[12:13], v[8:9]
	s_delay_alu instid0(VALU_DEP_1) | instskip(NEXT) | instid1(VALU_DEP_1)
	v_fma_f64 v[6:7], -v[6:7], v[10:11], v[12:13]
	v_div_fmas_f64 v[6:7], v[6:7], v[8:9], v[10:11]
	s_delay_alu instid0(VALU_DEP_1) | instskip(NEXT) | instid1(VALU_DEP_1)
	v_div_fixup_f64 v[6:7], v[6:7], s[2:3], s[0:1]
	v_fma_f64 v[8:9], s[0:1], v[6:7], s[2:3]
	s_delay_alu instid0(VALU_DEP_1) | instskip(SKIP_1) | instid1(VALU_DEP_2)
	v_div_scale_f64 v[10:11], null, v[8:9], v[8:9], 1.0
	v_div_scale_f64 v[16:17], vcc_lo, 1.0, v[8:9], 1.0
	v_rcp_f64_e32 v[12:13], v[10:11]
	v_nop
	s_delay_alu instid0(TRANS32_DEP_1) | instskip(NEXT) | instid1(VALU_DEP_1)
	v_fma_f64 v[14:15], -v[10:11], v[12:13], 1.0
	v_fmac_f64_e32 v[12:13], v[12:13], v[14:15]
	s_delay_alu instid0(VALU_DEP_1) | instskip(NEXT) | instid1(VALU_DEP_1)
	v_fma_f64 v[14:15], -v[10:11], v[12:13], 1.0
	v_fmac_f64_e32 v[12:13], v[12:13], v[14:15]
	s_delay_alu instid0(VALU_DEP_1) | instskip(NEXT) | instid1(VALU_DEP_1)
	v_mul_f64_e32 v[14:15], v[16:17], v[12:13]
	v_fma_f64 v[10:11], -v[10:11], v[14:15], v[16:17]
	s_delay_alu instid0(VALU_DEP_1) | instskip(SKIP_2) | instid1(VALU_DEP_2)
	v_div_fmas_f64 v[10:11], v[10:11], v[12:13], v[14:15]
	s_wait_loadcnt 0x0
	v_fma_f64 v[12:13], v[0:1], v[6:7], v[2:3]
	v_div_fixup_f64 v[8:9], v[10:11], v[8:9], 1.0
	v_fma_f64 v[10:11], v[2:3], v[6:7], -v[0:1]
	s_delay_alu instid0(VALU_DEP_2) | instskip(NEXT) | instid1(VALU_DEP_2)
	v_mul_f64_e32 v[6:7], v[12:13], v[8:9]
	v_mul_f64_e32 v[8:9], v[10:11], v[8:9]
	s_cbranch_execz .LBB7_16
	s_branch .LBB7_17
.LBB7_15:
                                        ; implicit-def: $vgpr6_vgpr7
                                        ; implicit-def: $vgpr8_vgpr9
.LBB7_16:
	v_div_scale_f64 v[6:7], null, s[0:1], s[0:1], s[2:3]
	v_div_scale_f64 v[12:13], vcc_lo, s[2:3], s[0:1], s[2:3]
	s_delay_alu instid0(VALU_DEP_2) | instskip(SKIP_1) | instid1(TRANS32_DEP_1)
	v_rcp_f64_e32 v[8:9], v[6:7]
	v_nop
	v_fma_f64 v[10:11], -v[6:7], v[8:9], 1.0
	s_delay_alu instid0(VALU_DEP_1) | instskip(NEXT) | instid1(VALU_DEP_1)
	v_fmac_f64_e32 v[8:9], v[8:9], v[10:11]
	v_fma_f64 v[10:11], -v[6:7], v[8:9], 1.0
	s_delay_alu instid0(VALU_DEP_1) | instskip(NEXT) | instid1(VALU_DEP_1)
	v_fmac_f64_e32 v[8:9], v[8:9], v[10:11]
	v_mul_f64_e32 v[10:11], v[12:13], v[8:9]
	s_delay_alu instid0(VALU_DEP_1) | instskip(NEXT) | instid1(VALU_DEP_1)
	v_fma_f64 v[6:7], -v[6:7], v[10:11], v[12:13]
	v_div_fmas_f64 v[6:7], v[6:7], v[8:9], v[10:11]
	s_delay_alu instid0(VALU_DEP_1) | instskip(NEXT) | instid1(VALU_DEP_1)
	v_div_fixup_f64 v[6:7], v[6:7], s[0:1], s[2:3]
	v_fma_f64 v[8:9], s[2:3], v[6:7], s[0:1]
	s_delay_alu instid0(VALU_DEP_1) | instskip(SKIP_1) | instid1(VALU_DEP_2)
	v_div_scale_f64 v[10:11], null, v[8:9], v[8:9], 1.0
	v_div_scale_f64 v[16:17], vcc_lo, 1.0, v[8:9], 1.0
	v_rcp_f64_e32 v[12:13], v[10:11]
	v_nop
	s_delay_alu instid0(TRANS32_DEP_1) | instskip(NEXT) | instid1(VALU_DEP_1)
	v_fma_f64 v[14:15], -v[10:11], v[12:13], 1.0
	v_fmac_f64_e32 v[12:13], v[12:13], v[14:15]
	s_delay_alu instid0(VALU_DEP_1) | instskip(NEXT) | instid1(VALU_DEP_1)
	v_fma_f64 v[14:15], -v[10:11], v[12:13], 1.0
	v_fmac_f64_e32 v[12:13], v[12:13], v[14:15]
	s_delay_alu instid0(VALU_DEP_1) | instskip(NEXT) | instid1(VALU_DEP_1)
	v_mul_f64_e32 v[14:15], v[16:17], v[12:13]
	v_fma_f64 v[10:11], -v[10:11], v[14:15], v[16:17]
	s_delay_alu instid0(VALU_DEP_1) | instskip(SKIP_3) | instid1(VALU_DEP_3)
	v_div_fmas_f64 v[10:11], v[10:11], v[12:13], v[14:15]
	s_wait_loadcnt 0x0
	v_fma_f64 v[12:13], v[2:3], v[6:7], v[0:1]
	v_fma_f64 v[0:1], -v[0:1], v[6:7], v[2:3]
	v_div_fixup_f64 v[8:9], v[10:11], v[8:9], 1.0
	s_delay_alu instid0(VALU_DEP_1) | instskip(NEXT) | instid1(VALU_DEP_3)
	v_mul_f64_e32 v[6:7], v[12:13], v[8:9]
	v_mul_f64_e32 v[8:9], v[0:1], v[8:9]
.LBB7_17:
	s_wait_loadcnt 0x0
	s_delay_alu instid0(VALU_DEP_1) | instskip(NEXT) | instid1(VALU_DEP_3)
	v_mov_b64_e32 v[2:3], v[8:9]
	v_mov_b64_e32 v[0:1], v[6:7]
.LBB7_18:
	s_or_b32 exec_lo, exec_lo, s6
	s_wait_loadcnt 0x0
	global_store_b128 v[4:5], v[0:3], off
.LBB7_19:
	s_endpgm
	.section	.rodata,"a",@progbits
	.p2align	6, 0x0
	.amdhsa_kernel _ZN9rocsolver6v33100L36nonunit_backward_substitution_kernelI19rocblas_complex_numIdEiPS3_EEvT0_S5_T1_S5_S5_llS6_S5_S5_ll
		.amdhsa_group_segment_fixed_size 0
		.amdhsa_private_segment_fixed_size 0
		.amdhsa_kernarg_size 328
		.amdhsa_user_sgpr_count 2
		.amdhsa_user_sgpr_dispatch_ptr 0
		.amdhsa_user_sgpr_queue_ptr 0
		.amdhsa_user_sgpr_kernarg_segment_ptr 1
		.amdhsa_user_sgpr_dispatch_id 0
		.amdhsa_user_sgpr_kernarg_preload_length 0
		.amdhsa_user_sgpr_kernarg_preload_offset 0
		.amdhsa_user_sgpr_private_segment_size 0
		.amdhsa_wavefront_size32 1
		.amdhsa_uses_dynamic_stack 0
		.amdhsa_enable_private_segment 0
		.amdhsa_system_sgpr_workgroup_id_x 1
		.amdhsa_system_sgpr_workgroup_id_y 1
		.amdhsa_system_sgpr_workgroup_id_z 1
		.amdhsa_system_sgpr_workgroup_info 0
		.amdhsa_system_vgpr_workitem_id 1
		.amdhsa_next_free_vgpr 24
		.amdhsa_next_free_sgpr 16
		.amdhsa_named_barrier_count 0
		.amdhsa_reserve_vcc 1
		.amdhsa_float_round_mode_32 0
		.amdhsa_float_round_mode_16_64 0
		.amdhsa_float_denorm_mode_32 3
		.amdhsa_float_denorm_mode_16_64 3
		.amdhsa_fp16_overflow 0
		.amdhsa_memory_ordered 1
		.amdhsa_forward_progress 1
		.amdhsa_inst_pref_size 13
		.amdhsa_round_robin_scheduling 0
		.amdhsa_exception_fp_ieee_invalid_op 0
		.amdhsa_exception_fp_denorm_src 0
		.amdhsa_exception_fp_ieee_div_zero 0
		.amdhsa_exception_fp_ieee_overflow 0
		.amdhsa_exception_fp_ieee_underflow 0
		.amdhsa_exception_fp_ieee_inexact 0
		.amdhsa_exception_int_div_zero 0
	.end_amdhsa_kernel
	.section	.text._ZN9rocsolver6v33100L36nonunit_backward_substitution_kernelI19rocblas_complex_numIdEiPS3_EEvT0_S5_T1_S5_S5_llS6_S5_S5_ll,"axG",@progbits,_ZN9rocsolver6v33100L36nonunit_backward_substitution_kernelI19rocblas_complex_numIdEiPS3_EEvT0_S5_T1_S5_S5_llS6_S5_S5_ll,comdat
.Lfunc_end7:
	.size	_ZN9rocsolver6v33100L36nonunit_backward_substitution_kernelI19rocblas_complex_numIdEiPS3_EEvT0_S5_T1_S5_S5_llS6_S5_S5_ll, .Lfunc_end7-_ZN9rocsolver6v33100L36nonunit_backward_substitution_kernelI19rocblas_complex_numIdEiPS3_EEvT0_S5_T1_S5_S5_llS6_S5_S5_ll
                                        ; -- End function
	.set _ZN9rocsolver6v33100L36nonunit_backward_substitution_kernelI19rocblas_complex_numIdEiPS3_EEvT0_S5_T1_S5_S5_llS6_S5_S5_ll.num_vgpr, 24
	.set _ZN9rocsolver6v33100L36nonunit_backward_substitution_kernelI19rocblas_complex_numIdEiPS3_EEvT0_S5_T1_S5_S5_llS6_S5_S5_ll.num_agpr, 0
	.set _ZN9rocsolver6v33100L36nonunit_backward_substitution_kernelI19rocblas_complex_numIdEiPS3_EEvT0_S5_T1_S5_S5_llS6_S5_S5_ll.numbered_sgpr, 16
	.set _ZN9rocsolver6v33100L36nonunit_backward_substitution_kernelI19rocblas_complex_numIdEiPS3_EEvT0_S5_T1_S5_S5_llS6_S5_S5_ll.num_named_barrier, 0
	.set _ZN9rocsolver6v33100L36nonunit_backward_substitution_kernelI19rocblas_complex_numIdEiPS3_EEvT0_S5_T1_S5_S5_llS6_S5_S5_ll.private_seg_size, 0
	.set _ZN9rocsolver6v33100L36nonunit_backward_substitution_kernelI19rocblas_complex_numIdEiPS3_EEvT0_S5_T1_S5_S5_llS6_S5_S5_ll.uses_vcc, 1
	.set _ZN9rocsolver6v33100L36nonunit_backward_substitution_kernelI19rocblas_complex_numIdEiPS3_EEvT0_S5_T1_S5_S5_llS6_S5_S5_ll.uses_flat_scratch, 0
	.set _ZN9rocsolver6v33100L36nonunit_backward_substitution_kernelI19rocblas_complex_numIdEiPS3_EEvT0_S5_T1_S5_S5_llS6_S5_S5_ll.has_dyn_sized_stack, 0
	.set _ZN9rocsolver6v33100L36nonunit_backward_substitution_kernelI19rocblas_complex_numIdEiPS3_EEvT0_S5_T1_S5_S5_llS6_S5_S5_ll.has_recursion, 0
	.set _ZN9rocsolver6v33100L36nonunit_backward_substitution_kernelI19rocblas_complex_numIdEiPS3_EEvT0_S5_T1_S5_S5_llS6_S5_S5_ll.has_indirect_call, 0
	.section	.AMDGPU.csdata,"",@progbits
; Kernel info:
; codeLenInByte = 1616
; TotalNumSgprs: 18
; NumVgprs: 24
; ScratchSize: 0
; MemoryBound: 1
; FloatMode: 240
; IeeeMode: 1
; LDSByteSize: 0 bytes/workgroup (compile time only)
; SGPRBlocks: 0
; VGPRBlocks: 1
; NumSGPRsForWavesPerEU: 18
; NumVGPRsForWavesPerEU: 24
; NamedBarCnt: 0
; Occupancy: 16
; WaveLimiterHint : 0
; COMPUTE_PGM_RSRC2:SCRATCH_EN: 0
; COMPUTE_PGM_RSRC2:USER_SGPR: 2
; COMPUTE_PGM_RSRC2:TRAP_HANDLER: 0
; COMPUTE_PGM_RSRC2:TGID_X_EN: 1
; COMPUTE_PGM_RSRC2:TGID_Y_EN: 1
; COMPUTE_PGM_RSRC2:TGID_Z_EN: 1
; COMPUTE_PGM_RSRC2:TIDIG_COMP_CNT: 1
	.section	.text._ZN9rocsolver6v33100L37conj_unit_forward_substitution_kernelI19rocblas_complex_numIdEiPKPS3_EEvT0_S7_T1_S7_S7_llS8_S7_S7_ll,"axG",@progbits,_ZN9rocsolver6v33100L37conj_unit_forward_substitution_kernelI19rocblas_complex_numIdEiPKPS3_EEvT0_S7_T1_S7_S7_llS8_S7_S7_ll,comdat
	.globl	_ZN9rocsolver6v33100L37conj_unit_forward_substitution_kernelI19rocblas_complex_numIdEiPKPS3_EEvT0_S7_T1_S7_S7_llS8_S7_S7_ll ; -- Begin function _ZN9rocsolver6v33100L37conj_unit_forward_substitution_kernelI19rocblas_complex_numIdEiPKPS3_EEvT0_S7_T1_S7_S7_llS8_S7_S7_ll
	.p2align	8
	.type	_ZN9rocsolver6v33100L37conj_unit_forward_substitution_kernelI19rocblas_complex_numIdEiPKPS3_EEvT0_S7_T1_S7_S7_llS8_S7_S7_ll,@function
_ZN9rocsolver6v33100L37conj_unit_forward_substitution_kernelI19rocblas_complex_numIdEiPKPS3_EEvT0_S7_T1_S7_S7_llS8_S7_S7_ll: ; @_ZN9rocsolver6v33100L37conj_unit_forward_substitution_kernelI19rocblas_complex_numIdEiPKPS3_EEvT0_S7_T1_S7_S7_llS8_S7_S7_ll
; %bb.0:
	s_clause 0x1
	s_load_u16 s3, s[0:1], 0x56
	s_load_b64 s[8:9], s[0:1], 0x0
	s_bfe_u32 s2, ttmp6, 0x40010
	s_and_b32 s4, ttmp7, 0xffff
	s_add_co_i32 s2, s2, 1
	s_bfe_u32 s6, ttmp6, 0x40004
	s_mul_i32 s5, s4, s2
	s_getreg_b32 s2, hwreg(HW_REG_IB_STS2, 6, 4)
	v_bfe_u32 v6, v0, 10, 10
	s_add_co_i32 s6, s6, s5
	s_cmp_eq_u32 s2, 0
	s_cselect_b32 s4, s4, s6
	s_wait_kmcnt 0x0
	v_mad_u32 v1, s4, s3, v6
	s_mov_b32 s3, exec_lo
	s_delay_alu instid0(VALU_DEP_1)
	v_cmpx_gt_i32_e64 s9, v1
	s_cbranch_execz .LBB8_9
; %bb.1:
	s_load_b128 s[4:7], s[0:1], 0x28
	s_bfe_u32 s3, ttmp6, 0x40014
	s_lshr_b32 s9, ttmp7, 16
	s_add_co_i32 s3, s3, 1
	s_bfe_u32 s10, ttmp6, 0x40008
	s_mul_i32 s3, s9, s3
	v_and_b32_e32 v10, 0x3ff, v0
	s_add_co_i32 s10, s10, s3
	s_cmp_eq_u32 s2, 0
	s_cselect_b32 s9, s9, s10
	s_load_b64 s[2:3], s[0:1], 0x38
	s_wait_kmcnt 0x0
	s_load_b64 s[10:11], s[4:5], s9 offset:0x0 scale_offset
	v_mul_lo_u32 v0, s6, v10
	s_delay_alu instid0(VALU_DEP_1)
	v_mad_u32 v4, v1, s7, v0
	s_lshl_b64 s[2:3], s[2:3], 4
	s_cmp_lt_i32 s8, 2
	s_wait_kmcnt 0x0
	s_add_nc_u64 s[2:3], s[10:11], s[2:3]
	flat_load_b128 v[0:3], v4, s[2:3] scale_offset
	v_ashrrev_i32_e32 v5, 31, v4
	s_cbranch_scc1 .LBB8_8
; %bb.2:
	s_clause 0x1
	s_load_b128 s[4:7], s[0:1], 0x8
	s_load_b64 s[10:11], s[0:1], 0x18
	v_lshl_add_u32 v12, v6, 4, 0
	s_wait_kmcnt 0x0
	s_load_b64 s[0:1], s[4:5], s9 offset:0x0 scale_offset
	v_mul_lo_u32 v11, s6, v10
	s_lshl_b64 s[10:11], s[10:11], 4
	s_wait_xcnt 0x0
	s_mov_b32 s4, 0
	s_add_co_i32 s5, s8, -1
	s_wait_kmcnt 0x0
	s_add_nc_u64 s[0:1], s[0:1], s[10:11]
	s_branch .LBB8_4
.LBB8_3:                                ;   in Loop: Header=BB8_4 Depth=1
	s_or_b32 exec_lo, exec_lo, s6
	s_delay_alu instid0(VALU_DEP_2) | instskip(NEXT) | instid1(VALU_DEP_2)
	v_add_f64_e64 v[0:1], v[0:1], -v[6:7]
	v_dual_add_f64 v[2:3], v[2:3], -v[8:9] :: v_dual_add_nc_u32 v11, s7, v11
	s_add_co_i32 s4, s4, 1
	s_delay_alu instid0(SALU_CYCLE_1)
	s_cmp_eq_u32 s5, s4
	s_cbranch_scc1 .LBB8_8
.LBB8_4:                                ; =>This Inner Loop Header: Depth=1
	s_mov_b32 s6, exec_lo
	s_wait_loadcnt_dscnt 0x0
	s_barrier_signal -1
	s_barrier_wait -1
	v_cmpx_eq_u32_e64 s4, v10
; %bb.5:                                ;   in Loop: Header=BB8_4 Depth=1
	ds_store_2addr_b64 v12, v[0:1], v[2:3] offset1:1
; %bb.6:                                ;   in Loop: Header=BB8_4 Depth=1
	s_or_b32 exec_lo, exec_lo, s6
	v_mov_b64_e32 v[8:9], 0
	v_mov_b64_e32 v[6:7], 0
	s_mov_b32 s6, exec_lo
	s_wait_dscnt 0x0
	s_barrier_signal -1
	s_barrier_wait -1
	v_cmpx_lt_u32_e64 s4, v10
	s_cbranch_execz .LBB8_3
; %bb.7:                                ;   in Loop: Header=BB8_4 Depth=1
	flat_load_b128 v[14:17], v11, s[0:1] scale_offset
	ds_load_2addr_b64 v[18:21], v12 offset1:1
	s_wait_loadcnt_dscnt 0x0
	v_mul_f64_e32 v[6:7], v[16:17], v[20:21]
	v_mul_f64_e32 v[8:9], v[16:17], v[18:19]
	s_delay_alu instid0(VALU_DEP_2) | instskip(NEXT) | instid1(VALU_DEP_2)
	v_fmac_f64_e32 v[6:7], v[14:15], v[18:19]
	v_fma_f64 v[8:9], v[14:15], v[20:21], -v[8:9]
	s_branch .LBB8_3
.LBB8_8:
	s_wait_xcnt 0x0
	s_delay_alu instid0(VALU_DEP_1)
	v_lshl_add_u64 v[4:5], v[4:5], 4, s[2:3]
	s_wait_loadcnt_dscnt 0x0
	flat_store_b128 v[4:5], v[0:3]
.LBB8_9:
	s_endpgm
	.section	.rodata,"a",@progbits
	.p2align	6, 0x0
	.amdhsa_kernel _ZN9rocsolver6v33100L37conj_unit_forward_substitution_kernelI19rocblas_complex_numIdEiPKPS3_EEvT0_S7_T1_S7_S7_llS8_S7_S7_ll
		.amdhsa_group_segment_fixed_size 0
		.amdhsa_private_segment_fixed_size 0
		.amdhsa_kernarg_size 328
		.amdhsa_user_sgpr_count 2
		.amdhsa_user_sgpr_dispatch_ptr 0
		.amdhsa_user_sgpr_queue_ptr 0
		.amdhsa_user_sgpr_kernarg_segment_ptr 1
		.amdhsa_user_sgpr_dispatch_id 0
		.amdhsa_user_sgpr_kernarg_preload_length 0
		.amdhsa_user_sgpr_kernarg_preload_offset 0
		.amdhsa_user_sgpr_private_segment_size 0
		.amdhsa_wavefront_size32 1
		.amdhsa_uses_dynamic_stack 0
		.amdhsa_enable_private_segment 0
		.amdhsa_system_sgpr_workgroup_id_x 1
		.amdhsa_system_sgpr_workgroup_id_y 1
		.amdhsa_system_sgpr_workgroup_id_z 1
		.amdhsa_system_sgpr_workgroup_info 0
		.amdhsa_system_vgpr_workitem_id 1
		.amdhsa_next_free_vgpr 22
		.amdhsa_next_free_sgpr 12
		.amdhsa_named_barrier_count 0
		.amdhsa_reserve_vcc 0
		.amdhsa_float_round_mode_32 0
		.amdhsa_float_round_mode_16_64 0
		.amdhsa_float_denorm_mode_32 3
		.amdhsa_float_denorm_mode_16_64 3
		.amdhsa_fp16_overflow 0
		.amdhsa_memory_ordered 1
		.amdhsa_forward_progress 1
		.amdhsa_inst_pref_size 5
		.amdhsa_round_robin_scheduling 0
		.amdhsa_exception_fp_ieee_invalid_op 0
		.amdhsa_exception_fp_denorm_src 0
		.amdhsa_exception_fp_ieee_div_zero 0
		.amdhsa_exception_fp_ieee_overflow 0
		.amdhsa_exception_fp_ieee_underflow 0
		.amdhsa_exception_fp_ieee_inexact 0
		.amdhsa_exception_int_div_zero 0
	.end_amdhsa_kernel
	.section	.text._ZN9rocsolver6v33100L37conj_unit_forward_substitution_kernelI19rocblas_complex_numIdEiPKPS3_EEvT0_S7_T1_S7_S7_llS8_S7_S7_ll,"axG",@progbits,_ZN9rocsolver6v33100L37conj_unit_forward_substitution_kernelI19rocblas_complex_numIdEiPKPS3_EEvT0_S7_T1_S7_S7_llS8_S7_S7_ll,comdat
.Lfunc_end8:
	.size	_ZN9rocsolver6v33100L37conj_unit_forward_substitution_kernelI19rocblas_complex_numIdEiPKPS3_EEvT0_S7_T1_S7_S7_llS8_S7_S7_ll, .Lfunc_end8-_ZN9rocsolver6v33100L37conj_unit_forward_substitution_kernelI19rocblas_complex_numIdEiPKPS3_EEvT0_S7_T1_S7_S7_llS8_S7_S7_ll
                                        ; -- End function
	.set _ZN9rocsolver6v33100L37conj_unit_forward_substitution_kernelI19rocblas_complex_numIdEiPKPS3_EEvT0_S7_T1_S7_S7_llS8_S7_S7_ll.num_vgpr, 22
	.set _ZN9rocsolver6v33100L37conj_unit_forward_substitution_kernelI19rocblas_complex_numIdEiPKPS3_EEvT0_S7_T1_S7_S7_llS8_S7_S7_ll.num_agpr, 0
	.set _ZN9rocsolver6v33100L37conj_unit_forward_substitution_kernelI19rocblas_complex_numIdEiPKPS3_EEvT0_S7_T1_S7_S7_llS8_S7_S7_ll.numbered_sgpr, 12
	.set _ZN9rocsolver6v33100L37conj_unit_forward_substitution_kernelI19rocblas_complex_numIdEiPKPS3_EEvT0_S7_T1_S7_S7_llS8_S7_S7_ll.num_named_barrier, 0
	.set _ZN9rocsolver6v33100L37conj_unit_forward_substitution_kernelI19rocblas_complex_numIdEiPKPS3_EEvT0_S7_T1_S7_S7_llS8_S7_S7_ll.private_seg_size, 0
	.set _ZN9rocsolver6v33100L37conj_unit_forward_substitution_kernelI19rocblas_complex_numIdEiPKPS3_EEvT0_S7_T1_S7_S7_llS8_S7_S7_ll.uses_vcc, 0
	.set _ZN9rocsolver6v33100L37conj_unit_forward_substitution_kernelI19rocblas_complex_numIdEiPKPS3_EEvT0_S7_T1_S7_S7_llS8_S7_S7_ll.uses_flat_scratch, 0
	.set _ZN9rocsolver6v33100L37conj_unit_forward_substitution_kernelI19rocblas_complex_numIdEiPKPS3_EEvT0_S7_T1_S7_S7_llS8_S7_S7_ll.has_dyn_sized_stack, 0
	.set _ZN9rocsolver6v33100L37conj_unit_forward_substitution_kernelI19rocblas_complex_numIdEiPKPS3_EEvT0_S7_T1_S7_S7_llS8_S7_S7_ll.has_recursion, 0
	.set _ZN9rocsolver6v33100L37conj_unit_forward_substitution_kernelI19rocblas_complex_numIdEiPKPS3_EEvT0_S7_T1_S7_S7_llS8_S7_S7_ll.has_indirect_call, 0
	.section	.AMDGPU.csdata,"",@progbits
; Kernel info:
; codeLenInByte = 520
; TotalNumSgprs: 12
; NumVgprs: 22
; ScratchSize: 0
; MemoryBound: 0
; FloatMode: 240
; IeeeMode: 1
; LDSByteSize: 0 bytes/workgroup (compile time only)
; SGPRBlocks: 0
; VGPRBlocks: 1
; NumSGPRsForWavesPerEU: 12
; NumVGPRsForWavesPerEU: 22
; NamedBarCnt: 0
; Occupancy: 16
; WaveLimiterHint : 1
; COMPUTE_PGM_RSRC2:SCRATCH_EN: 0
; COMPUTE_PGM_RSRC2:USER_SGPR: 2
; COMPUTE_PGM_RSRC2:TRAP_HANDLER: 0
; COMPUTE_PGM_RSRC2:TGID_X_EN: 1
; COMPUTE_PGM_RSRC2:TGID_Y_EN: 1
; COMPUTE_PGM_RSRC2:TGID_Z_EN: 1
; COMPUTE_PGM_RSRC2:TIDIG_COMP_CNT: 1
	.section	.text._ZN9rocsolver6v33100L40conj_nonunit_forward_substitution_kernelI19rocblas_complex_numIdEiPKPS3_EEvT0_S7_T1_S7_S7_llS8_S7_S7_ll,"axG",@progbits,_ZN9rocsolver6v33100L40conj_nonunit_forward_substitution_kernelI19rocblas_complex_numIdEiPKPS3_EEvT0_S7_T1_S7_S7_llS8_S7_S7_ll,comdat
	.globl	_ZN9rocsolver6v33100L40conj_nonunit_forward_substitution_kernelI19rocblas_complex_numIdEiPKPS3_EEvT0_S7_T1_S7_S7_llS8_S7_S7_ll ; -- Begin function _ZN9rocsolver6v33100L40conj_nonunit_forward_substitution_kernelI19rocblas_complex_numIdEiPKPS3_EEvT0_S7_T1_S7_S7_llS8_S7_S7_ll
	.p2align	8
	.type	_ZN9rocsolver6v33100L40conj_nonunit_forward_substitution_kernelI19rocblas_complex_numIdEiPKPS3_EEvT0_S7_T1_S7_S7_llS8_S7_S7_ll,@function
_ZN9rocsolver6v33100L40conj_nonunit_forward_substitution_kernelI19rocblas_complex_numIdEiPKPS3_EEvT0_S7_T1_S7_S7_llS8_S7_S7_ll: ; @_ZN9rocsolver6v33100L40conj_nonunit_forward_substitution_kernelI19rocblas_complex_numIdEiPKPS3_EEvT0_S7_T1_S7_S7_llS8_S7_S7_ll
; %bb.0:
	s_clause 0x1
	s_load_u16 s3, s[0:1], 0x56
	s_load_b64 s[8:9], s[0:1], 0x0
	s_bfe_u32 s2, ttmp6, 0x40010
	s_and_b32 s4, ttmp7, 0xffff
	s_add_co_i32 s2, s2, 1
	s_bfe_u32 s6, ttmp6, 0x40004
	s_mul_i32 s5, s4, s2
	s_getreg_b32 s2, hwreg(HW_REG_IB_STS2, 6, 4)
	v_bfe_u32 v4, v0, 10, 10
	s_add_co_i32 s6, s6, s5
	s_cmp_eq_u32 s2, 0
	s_cselect_b32 s4, s4, s6
	s_wait_kmcnt 0x0
	v_mad_u32 v1, s4, s3, v4
	s_mov_b32 s3, exec_lo
	s_delay_alu instid0(VALU_DEP_1)
	v_cmpx_gt_i32_e64 s9, v1
	s_cbranch_execz .LBB9_19
; %bb.1:
	s_load_b128 s[4:7], s[0:1], 0x28
	s_bfe_u32 s3, ttmp6, 0x40014
	s_lshr_b32 s9, ttmp7, 16
	s_add_co_i32 s3, s3, 1
	s_bfe_u32 s10, ttmp6, 0x40008
	s_mul_i32 s3, s9, s3
	v_and_b32_e32 v12, 0x3ff, v0
	s_add_co_i32 s10, s10, s3
	s_cmp_eq_u32 s2, 0
	s_cselect_b32 s9, s9, s10
	s_load_b64 s[2:3], s[0:1], 0x38
	s_wait_kmcnt 0x0
	s_load_b64 s[10:11], s[4:5], s9 offset:0x0 scale_offset
	v_mul_lo_u32 v0, s6, v12
	s_delay_alu instid0(VALU_DEP_1)
	v_mad_u32 v8, v1, s7, v0
	s_lshl_b64 s[2:3], s[2:3], 4
	s_wait_kmcnt 0x0
	s_add_nc_u64 s[2:3], s[10:11], s[2:3]
	flat_load_b128 v[0:3], v8, s[2:3] scale_offset
	s_clause 0x1
	s_load_b128 s[4:7], s[0:1], 0x8
	s_load_b64 s[10:11], s[0:1], 0x18
	v_ashrrev_i32_e32 v9, 31, v8
	s_wait_kmcnt 0x0
	s_load_b64 s[0:1], s[4:5], s9 offset:0x0 scale_offset
	s_lshl_b64 s[10:11], s[10:11], 4
	s_wait_xcnt 0x0
	s_add_co_i32 s4, s8, -1
	s_cmp_lt_i32 s8, 2
	s_wait_kmcnt 0x0
	s_add_nc_u64 s[0:1], s[0:1], s[10:11]
	s_cbranch_scc1 .LBB9_12
; %bb.2:
	s_add_co_i32 s5, s7, s6
	v_mul_lo_u32 v13, s6, v12
	v_mul_lo_u32 v6, s5, v12
	v_lshl_add_u32 v14, v4, 4, 0
	s_mov_b32 s5, 0
	s_delay_alu instid0(VALU_DEP_2) | instskip(NEXT) | instid1(VALU_DEP_1)
	v_ashrrev_i32_e32 v7, 31, v6
	v_lshl_add_u64 v[10:11], v[6:7], 4, s[0:1]
	s_branch .LBB9_4
.LBB9_3:                                ;   in Loop: Header=BB9_4 Depth=1
	s_or_b32 exec_lo, exec_lo, s8
	s_delay_alu instid0(VALU_DEP_2) | instskip(NEXT) | instid1(VALU_DEP_2)
	v_add_f64_e64 v[0:1], v[0:1], -v[4:5]
	v_dual_add_f64 v[2:3], v[2:3], -v[6:7] :: v_dual_add_nc_u32 v13, s7, v13
	s_add_co_i32 s5, s5, 1
	s_delay_alu instid0(SALU_CYCLE_1)
	s_cmp_eq_u32 s4, s5
	s_cbranch_scc1 .LBB9_12
.LBB9_4:                                ; =>This Inner Loop Header: Depth=1
	s_mov_b32 s8, exec_lo
	s_wait_loadcnt_dscnt 0x0
	s_barrier_signal -1
	s_barrier_wait -1
	v_cmpx_eq_u32_e64 s5, v12
	s_cbranch_execz .LBB9_10
; %bb.5:                                ;   in Loop: Header=BB9_4 Depth=1
	flat_load_b128 v[4:7], v[10:11]
	s_wait_loadcnt_dscnt 0x0
	v_cmp_ngt_f64_e64 s9, |v[4:5]|, |v[6:7]|
	s_and_saveexec_b32 s10, s9
	s_delay_alu instid0(SALU_CYCLE_1)
	s_xor_b32 s9, exec_lo, s10
	s_cbranch_execz .LBB9_7
; %bb.6:                                ;   in Loop: Header=BB9_4 Depth=1
	v_div_scale_f64 v[16:17], null, -v[6:7], -v[6:7], v[4:5]
	v_div_scale_f64 v[22:23], vcc_lo, v[4:5], -v[6:7], v[4:5]
	s_delay_alu instid0(VALU_DEP_2) | instskip(SKIP_1) | instid1(TRANS32_DEP_1)
	v_rcp_f64_e32 v[18:19], v[16:17]
	v_nop
	v_fma_f64 v[20:21], -v[16:17], v[18:19], 1.0
	s_delay_alu instid0(VALU_DEP_1) | instskip(NEXT) | instid1(VALU_DEP_1)
	v_fmac_f64_e32 v[18:19], v[18:19], v[20:21]
	v_fma_f64 v[20:21], -v[16:17], v[18:19], 1.0
	s_delay_alu instid0(VALU_DEP_1) | instskip(NEXT) | instid1(VALU_DEP_1)
	v_fmac_f64_e32 v[18:19], v[18:19], v[20:21]
	v_mul_f64_e32 v[20:21], v[22:23], v[18:19]
	s_delay_alu instid0(VALU_DEP_1) | instskip(NEXT) | instid1(VALU_DEP_1)
	v_fma_f64 v[16:17], -v[16:17], v[20:21], v[22:23]
	v_div_fmas_f64 v[16:17], v[16:17], v[18:19], v[20:21]
	s_delay_alu instid0(VALU_DEP_1) | instskip(NEXT) | instid1(VALU_DEP_1)
	v_div_fixup_f64 v[16:17], v[16:17], -v[6:7], v[4:5]
	v_fma_f64 v[4:5], v[4:5], v[16:17], -v[6:7]
	s_delay_alu instid0(VALU_DEP_1) | instskip(SKIP_1) | instid1(VALU_DEP_2)
	v_div_scale_f64 v[6:7], null, v[4:5], v[4:5], 1.0
	v_div_scale_f64 v[22:23], vcc_lo, 1.0, v[4:5], 1.0
	v_rcp_f64_e32 v[18:19], v[6:7]
	v_nop
	s_delay_alu instid0(TRANS32_DEP_1) | instskip(NEXT) | instid1(VALU_DEP_1)
	v_fma_f64 v[20:21], -v[6:7], v[18:19], 1.0
	v_fmac_f64_e32 v[18:19], v[18:19], v[20:21]
	s_delay_alu instid0(VALU_DEP_1) | instskip(NEXT) | instid1(VALU_DEP_1)
	v_fma_f64 v[20:21], -v[6:7], v[18:19], 1.0
	v_fmac_f64_e32 v[18:19], v[18:19], v[20:21]
	s_delay_alu instid0(VALU_DEP_1) | instskip(NEXT) | instid1(VALU_DEP_1)
	v_mul_f64_e32 v[20:21], v[22:23], v[18:19]
	v_fma_f64 v[6:7], -v[6:7], v[20:21], v[22:23]
	s_delay_alu instid0(VALU_DEP_1) | instskip(NEXT) | instid1(VALU_DEP_1)
	v_div_fmas_f64 v[6:7], v[6:7], v[18:19], v[20:21]
	v_div_fixup_f64 v[4:5], v[6:7], v[4:5], 1.0
	v_fma_f64 v[6:7], v[0:1], v[16:17], v[2:3]
	v_fma_f64 v[0:1], v[2:3], v[16:17], -v[0:1]
	s_delay_alu instid0(VALU_DEP_2) | instskip(NEXT) | instid1(VALU_DEP_2)
	v_mul_f64_e32 v[6:7], v[6:7], v[4:5]
	v_mul_f64_e32 v[2:3], v[0:1], v[4:5]
	s_delay_alu instid0(VALU_DEP_2)
	v_mov_b64_e32 v[0:1], v[6:7]
                                        ; implicit-def: $vgpr4_vgpr5
.LBB9_7:                                ;   in Loop: Header=BB9_4 Depth=1
	s_and_not1_saveexec_b32 s9, s9
	s_cbranch_execz .LBB9_9
; %bb.8:                                ;   in Loop: Header=BB9_4 Depth=1
	v_div_scale_f64 v[16:17], null, v[4:5], v[4:5], -v[6:7]
	v_div_scale_f64 v[22:23], vcc_lo, -v[6:7], v[4:5], -v[6:7]
	s_delay_alu instid0(VALU_DEP_2) | instskip(SKIP_1) | instid1(TRANS32_DEP_1)
	v_rcp_f64_e32 v[18:19], v[16:17]
	v_nop
	v_fma_f64 v[20:21], -v[16:17], v[18:19], 1.0
	s_delay_alu instid0(VALU_DEP_1) | instskip(NEXT) | instid1(VALU_DEP_1)
	v_fmac_f64_e32 v[18:19], v[18:19], v[20:21]
	v_fma_f64 v[20:21], -v[16:17], v[18:19], 1.0
	s_delay_alu instid0(VALU_DEP_1) | instskip(NEXT) | instid1(VALU_DEP_1)
	v_fmac_f64_e32 v[18:19], v[18:19], v[20:21]
	v_mul_f64_e32 v[20:21], v[22:23], v[18:19]
	s_delay_alu instid0(VALU_DEP_1) | instskip(NEXT) | instid1(VALU_DEP_1)
	v_fma_f64 v[16:17], -v[16:17], v[20:21], v[22:23]
	v_div_fmas_f64 v[16:17], v[16:17], v[18:19], v[20:21]
	s_delay_alu instid0(VALU_DEP_1) | instskip(NEXT) | instid1(VALU_DEP_1)
	v_div_fixup_f64 v[16:17], v[16:17], v[4:5], -v[6:7]
	v_fma_f64 v[4:5], -v[6:7], v[16:17], v[4:5]
	s_delay_alu instid0(VALU_DEP_1) | instskip(SKIP_1) | instid1(VALU_DEP_2)
	v_div_scale_f64 v[6:7], null, v[4:5], v[4:5], 1.0
	v_div_scale_f64 v[22:23], vcc_lo, 1.0, v[4:5], 1.0
	v_rcp_f64_e32 v[18:19], v[6:7]
	v_nop
	s_delay_alu instid0(TRANS32_DEP_1) | instskip(NEXT) | instid1(VALU_DEP_1)
	v_fma_f64 v[20:21], -v[6:7], v[18:19], 1.0
	v_fmac_f64_e32 v[18:19], v[18:19], v[20:21]
	s_delay_alu instid0(VALU_DEP_1) | instskip(NEXT) | instid1(VALU_DEP_1)
	v_fma_f64 v[20:21], -v[6:7], v[18:19], 1.0
	v_fmac_f64_e32 v[18:19], v[18:19], v[20:21]
	s_delay_alu instid0(VALU_DEP_1) | instskip(NEXT) | instid1(VALU_DEP_1)
	v_mul_f64_e32 v[20:21], v[22:23], v[18:19]
	v_fma_f64 v[6:7], -v[6:7], v[20:21], v[22:23]
	s_delay_alu instid0(VALU_DEP_1) | instskip(NEXT) | instid1(VALU_DEP_1)
	v_div_fmas_f64 v[6:7], v[6:7], v[18:19], v[20:21]
	v_div_fixup_f64 v[4:5], v[6:7], v[4:5], 1.0
	v_fma_f64 v[6:7], v[2:3], v[16:17], v[0:1]
	v_fma_f64 v[0:1], -v[0:1], v[16:17], v[2:3]
	s_delay_alu instid0(VALU_DEP_2) | instskip(NEXT) | instid1(VALU_DEP_2)
	v_mul_f64_e32 v[6:7], v[6:7], v[4:5]
	v_mul_f64_e32 v[2:3], v[0:1], v[4:5]
	s_delay_alu instid0(VALU_DEP_2)
	v_mov_b64_e32 v[0:1], v[6:7]
.LBB9_9:                                ;   in Loop: Header=BB9_4 Depth=1
	s_or_b32 exec_lo, exec_lo, s9
	ds_store_2addr_b64 v14, v[0:1], v[2:3] offset1:1
.LBB9_10:                               ;   in Loop: Header=BB9_4 Depth=1
	s_or_b32 exec_lo, exec_lo, s8
	v_mov_b64_e32 v[4:5], 0
	v_mov_b64_e32 v[6:7], 0
	s_mov_b32 s8, exec_lo
	s_wait_dscnt 0x0
	s_barrier_signal -1
	s_barrier_wait -1
	v_cmpx_lt_u32_e64 s5, v12
	s_cbranch_execz .LBB9_3
; %bb.11:                               ;   in Loop: Header=BB9_4 Depth=1
	flat_load_b128 v[16:19], v13, s[0:1] scale_offset
	ds_load_2addr_b64 v[20:23], v14 offset1:1
	s_wait_loadcnt_dscnt 0x0
	v_mul_f64_e32 v[4:5], v[18:19], v[22:23]
	v_mul_f64_e32 v[6:7], v[18:19], v[20:21]
	s_delay_alu instid0(VALU_DEP_2) | instskip(NEXT) | instid1(VALU_DEP_2)
	v_fmac_f64_e32 v[4:5], v[16:17], v[20:21]
	v_fma_f64 v[6:7], v[16:17], v[22:23], -v[6:7]
	s_branch .LBB9_3
.LBB9_12:
	v_lshl_add_u64 v[8:9], v[8:9], 4, s[2:3]
	s_mov_b32 s2, exec_lo
	v_cmpx_eq_u32_e64 s4, v12
	s_cbranch_execz .LBB9_18
; %bb.13:
	s_add_co_i32 s3, s7, s6
	s_delay_alu instid0(SALU_CYCLE_1) | instskip(SKIP_4) | instid1(SALU_CYCLE_1)
	v_mul_lo_u32 v4, s3, v12
	flat_load_b128 v[4:7], v4, s[0:1] scale_offset
	s_wait_loadcnt_dscnt 0x0
	v_cmp_ngt_f64_e64 s0, |v[4:5]|, |v[6:7]|
	s_and_saveexec_b32 s1, s0
	s_xor_b32 s0, exec_lo, s1
	s_cbranch_execz .LBB9_15
; %bb.14:
	v_div_scale_f64 v[10:11], null, -v[6:7], -v[6:7], v[4:5]
	v_div_scale_f64 v[16:17], vcc_lo, v[4:5], -v[6:7], v[4:5]
	s_delay_alu instid0(VALU_DEP_2) | instskip(SKIP_1) | instid1(TRANS32_DEP_1)
	v_rcp_f64_e32 v[12:13], v[10:11]
	v_nop
	v_fma_f64 v[14:15], -v[10:11], v[12:13], 1.0
	s_delay_alu instid0(VALU_DEP_1) | instskip(NEXT) | instid1(VALU_DEP_1)
	v_fmac_f64_e32 v[12:13], v[12:13], v[14:15]
	v_fma_f64 v[14:15], -v[10:11], v[12:13], 1.0
	s_delay_alu instid0(VALU_DEP_1) | instskip(NEXT) | instid1(VALU_DEP_1)
	v_fmac_f64_e32 v[12:13], v[12:13], v[14:15]
	v_mul_f64_e32 v[14:15], v[16:17], v[12:13]
	s_delay_alu instid0(VALU_DEP_1) | instskip(NEXT) | instid1(VALU_DEP_1)
	v_fma_f64 v[10:11], -v[10:11], v[14:15], v[16:17]
	v_div_fmas_f64 v[10:11], v[10:11], v[12:13], v[14:15]
	s_delay_alu instid0(VALU_DEP_1) | instskip(NEXT) | instid1(VALU_DEP_1)
	v_div_fixup_f64 v[10:11], v[10:11], -v[6:7], v[4:5]
	v_fma_f64 v[4:5], v[4:5], v[10:11], -v[6:7]
	s_delay_alu instid0(VALU_DEP_1) | instskip(SKIP_1) | instid1(VALU_DEP_2)
	v_div_scale_f64 v[6:7], null, v[4:5], v[4:5], 1.0
	v_div_scale_f64 v[16:17], vcc_lo, 1.0, v[4:5], 1.0
	v_rcp_f64_e32 v[12:13], v[6:7]
	v_nop
	s_delay_alu instid0(TRANS32_DEP_1) | instskip(NEXT) | instid1(VALU_DEP_1)
	v_fma_f64 v[14:15], -v[6:7], v[12:13], 1.0
	v_fmac_f64_e32 v[12:13], v[12:13], v[14:15]
	s_delay_alu instid0(VALU_DEP_1) | instskip(NEXT) | instid1(VALU_DEP_1)
	v_fma_f64 v[14:15], -v[6:7], v[12:13], 1.0
	v_fmac_f64_e32 v[12:13], v[12:13], v[14:15]
	s_delay_alu instid0(VALU_DEP_1) | instskip(NEXT) | instid1(VALU_DEP_1)
	v_mul_f64_e32 v[14:15], v[16:17], v[12:13]
	v_fma_f64 v[6:7], -v[6:7], v[14:15], v[16:17]
	s_delay_alu instid0(VALU_DEP_1) | instskip(NEXT) | instid1(VALU_DEP_1)
	v_div_fmas_f64 v[6:7], v[6:7], v[12:13], v[14:15]
	v_div_fixup_f64 v[4:5], v[6:7], v[4:5], 1.0
	v_fma_f64 v[6:7], v[0:1], v[10:11], v[2:3]
	v_fma_f64 v[0:1], v[2:3], v[10:11], -v[0:1]
	s_delay_alu instid0(VALU_DEP_2) | instskip(NEXT) | instid1(VALU_DEP_2)
	v_mul_f64_e32 v[6:7], v[6:7], v[4:5]
	v_mul_f64_e32 v[2:3], v[0:1], v[4:5]
	s_delay_alu instid0(VALU_DEP_2)
	v_mov_b64_e32 v[0:1], v[6:7]
                                        ; implicit-def: $vgpr4_vgpr5
.LBB9_15:
	s_and_not1_saveexec_b32 s0, s0
	s_cbranch_execz .LBB9_17
; %bb.16:
	v_div_scale_f64 v[10:11], null, v[4:5], v[4:5], -v[6:7]
	v_div_scale_f64 v[16:17], vcc_lo, -v[6:7], v[4:5], -v[6:7]
	s_delay_alu instid0(VALU_DEP_2) | instskip(SKIP_1) | instid1(TRANS32_DEP_1)
	v_rcp_f64_e32 v[12:13], v[10:11]
	v_nop
	v_fma_f64 v[14:15], -v[10:11], v[12:13], 1.0
	s_delay_alu instid0(VALU_DEP_1) | instskip(NEXT) | instid1(VALU_DEP_1)
	v_fmac_f64_e32 v[12:13], v[12:13], v[14:15]
	v_fma_f64 v[14:15], -v[10:11], v[12:13], 1.0
	s_delay_alu instid0(VALU_DEP_1) | instskip(NEXT) | instid1(VALU_DEP_1)
	v_fmac_f64_e32 v[12:13], v[12:13], v[14:15]
	v_mul_f64_e32 v[14:15], v[16:17], v[12:13]
	s_delay_alu instid0(VALU_DEP_1) | instskip(NEXT) | instid1(VALU_DEP_1)
	v_fma_f64 v[10:11], -v[10:11], v[14:15], v[16:17]
	v_div_fmas_f64 v[10:11], v[10:11], v[12:13], v[14:15]
	s_delay_alu instid0(VALU_DEP_1) | instskip(NEXT) | instid1(VALU_DEP_1)
	v_div_fixup_f64 v[10:11], v[10:11], v[4:5], -v[6:7]
	v_fma_f64 v[4:5], -v[6:7], v[10:11], v[4:5]
	s_delay_alu instid0(VALU_DEP_1) | instskip(SKIP_1) | instid1(VALU_DEP_2)
	v_div_scale_f64 v[6:7], null, v[4:5], v[4:5], 1.0
	v_div_scale_f64 v[16:17], vcc_lo, 1.0, v[4:5], 1.0
	v_rcp_f64_e32 v[12:13], v[6:7]
	v_nop
	s_delay_alu instid0(TRANS32_DEP_1) | instskip(NEXT) | instid1(VALU_DEP_1)
	v_fma_f64 v[14:15], -v[6:7], v[12:13], 1.0
	v_fmac_f64_e32 v[12:13], v[12:13], v[14:15]
	s_delay_alu instid0(VALU_DEP_1) | instskip(NEXT) | instid1(VALU_DEP_1)
	v_fma_f64 v[14:15], -v[6:7], v[12:13], 1.0
	v_fmac_f64_e32 v[12:13], v[12:13], v[14:15]
	s_delay_alu instid0(VALU_DEP_1) | instskip(NEXT) | instid1(VALU_DEP_1)
	v_mul_f64_e32 v[14:15], v[16:17], v[12:13]
	v_fma_f64 v[6:7], -v[6:7], v[14:15], v[16:17]
	s_delay_alu instid0(VALU_DEP_1) | instskip(NEXT) | instid1(VALU_DEP_1)
	v_div_fmas_f64 v[6:7], v[6:7], v[12:13], v[14:15]
	v_div_fixup_f64 v[4:5], v[6:7], v[4:5], 1.0
	v_fma_f64 v[6:7], v[2:3], v[10:11], v[0:1]
	v_fma_f64 v[0:1], -v[0:1], v[10:11], v[2:3]
	s_delay_alu instid0(VALU_DEP_2) | instskip(NEXT) | instid1(VALU_DEP_2)
	v_mul_f64_e32 v[6:7], v[6:7], v[4:5]
	v_mul_f64_e32 v[2:3], v[0:1], v[4:5]
	s_delay_alu instid0(VALU_DEP_2)
	v_mov_b64_e32 v[0:1], v[6:7]
.LBB9_17:
	s_or_b32 exec_lo, exec_lo, s0
.LBB9_18:
	s_delay_alu instid0(SALU_CYCLE_1)
	s_or_b32 exec_lo, exec_lo, s2
	s_wait_loadcnt_dscnt 0x0
	flat_store_b128 v[8:9], v[0:3]
.LBB9_19:
	s_endpgm
	.section	.rodata,"a",@progbits
	.p2align	6, 0x0
	.amdhsa_kernel _ZN9rocsolver6v33100L40conj_nonunit_forward_substitution_kernelI19rocblas_complex_numIdEiPKPS3_EEvT0_S7_T1_S7_S7_llS8_S7_S7_ll
		.amdhsa_group_segment_fixed_size 0
		.amdhsa_private_segment_fixed_size 0
		.amdhsa_kernarg_size 328
		.amdhsa_user_sgpr_count 2
		.amdhsa_user_sgpr_dispatch_ptr 0
		.amdhsa_user_sgpr_queue_ptr 0
		.amdhsa_user_sgpr_kernarg_segment_ptr 1
		.amdhsa_user_sgpr_dispatch_id 0
		.amdhsa_user_sgpr_kernarg_preload_length 0
		.amdhsa_user_sgpr_kernarg_preload_offset 0
		.amdhsa_user_sgpr_private_segment_size 0
		.amdhsa_wavefront_size32 1
		.amdhsa_uses_dynamic_stack 0
		.amdhsa_enable_private_segment 0
		.amdhsa_system_sgpr_workgroup_id_x 1
		.amdhsa_system_sgpr_workgroup_id_y 1
		.amdhsa_system_sgpr_workgroup_id_z 1
		.amdhsa_system_sgpr_workgroup_info 0
		.amdhsa_system_vgpr_workitem_id 1
		.amdhsa_next_free_vgpr 24
		.amdhsa_next_free_sgpr 12
		.amdhsa_named_barrier_count 0
		.amdhsa_reserve_vcc 1
		.amdhsa_float_round_mode_32 0
		.amdhsa_float_round_mode_16_64 0
		.amdhsa_float_denorm_mode_32 3
		.amdhsa_float_denorm_mode_16_64 3
		.amdhsa_fp16_overflow 0
		.amdhsa_memory_ordered 1
		.amdhsa_forward_progress 1
		.amdhsa_inst_pref_size 13
		.amdhsa_round_robin_scheduling 0
		.amdhsa_exception_fp_ieee_invalid_op 0
		.amdhsa_exception_fp_denorm_src 0
		.amdhsa_exception_fp_ieee_div_zero 0
		.amdhsa_exception_fp_ieee_overflow 0
		.amdhsa_exception_fp_ieee_underflow 0
		.amdhsa_exception_fp_ieee_inexact 0
		.amdhsa_exception_int_div_zero 0
	.end_amdhsa_kernel
	.section	.text._ZN9rocsolver6v33100L40conj_nonunit_forward_substitution_kernelI19rocblas_complex_numIdEiPKPS3_EEvT0_S7_T1_S7_S7_llS8_S7_S7_ll,"axG",@progbits,_ZN9rocsolver6v33100L40conj_nonunit_forward_substitution_kernelI19rocblas_complex_numIdEiPKPS3_EEvT0_S7_T1_S7_S7_llS8_S7_S7_ll,comdat
.Lfunc_end9:
	.size	_ZN9rocsolver6v33100L40conj_nonunit_forward_substitution_kernelI19rocblas_complex_numIdEiPKPS3_EEvT0_S7_T1_S7_S7_llS8_S7_S7_ll, .Lfunc_end9-_ZN9rocsolver6v33100L40conj_nonunit_forward_substitution_kernelI19rocblas_complex_numIdEiPKPS3_EEvT0_S7_T1_S7_S7_llS8_S7_S7_ll
                                        ; -- End function
	.set _ZN9rocsolver6v33100L40conj_nonunit_forward_substitution_kernelI19rocblas_complex_numIdEiPKPS3_EEvT0_S7_T1_S7_S7_llS8_S7_S7_ll.num_vgpr, 24
	.set _ZN9rocsolver6v33100L40conj_nonunit_forward_substitution_kernelI19rocblas_complex_numIdEiPKPS3_EEvT0_S7_T1_S7_S7_llS8_S7_S7_ll.num_agpr, 0
	.set _ZN9rocsolver6v33100L40conj_nonunit_forward_substitution_kernelI19rocblas_complex_numIdEiPKPS3_EEvT0_S7_T1_S7_S7_llS8_S7_S7_ll.numbered_sgpr, 12
	.set _ZN9rocsolver6v33100L40conj_nonunit_forward_substitution_kernelI19rocblas_complex_numIdEiPKPS3_EEvT0_S7_T1_S7_S7_llS8_S7_S7_ll.num_named_barrier, 0
	.set _ZN9rocsolver6v33100L40conj_nonunit_forward_substitution_kernelI19rocblas_complex_numIdEiPKPS3_EEvT0_S7_T1_S7_S7_llS8_S7_S7_ll.private_seg_size, 0
	.set _ZN9rocsolver6v33100L40conj_nonunit_forward_substitution_kernelI19rocblas_complex_numIdEiPKPS3_EEvT0_S7_T1_S7_S7_llS8_S7_S7_ll.uses_vcc, 1
	.set _ZN9rocsolver6v33100L40conj_nonunit_forward_substitution_kernelI19rocblas_complex_numIdEiPKPS3_EEvT0_S7_T1_S7_S7_llS8_S7_S7_ll.uses_flat_scratch, 0
	.set _ZN9rocsolver6v33100L40conj_nonunit_forward_substitution_kernelI19rocblas_complex_numIdEiPKPS3_EEvT0_S7_T1_S7_S7_llS8_S7_S7_ll.has_dyn_sized_stack, 0
	.set _ZN9rocsolver6v33100L40conj_nonunit_forward_substitution_kernelI19rocblas_complex_numIdEiPKPS3_EEvT0_S7_T1_S7_S7_llS8_S7_S7_ll.has_recursion, 0
	.set _ZN9rocsolver6v33100L40conj_nonunit_forward_substitution_kernelI19rocblas_complex_numIdEiPKPS3_EEvT0_S7_T1_S7_S7_llS8_S7_S7_ll.has_indirect_call, 0
	.section	.AMDGPU.csdata,"",@progbits
; Kernel info:
; codeLenInByte = 1628
; TotalNumSgprs: 14
; NumVgprs: 24
; ScratchSize: 0
; MemoryBound: 0
; FloatMode: 240
; IeeeMode: 1
; LDSByteSize: 0 bytes/workgroup (compile time only)
; SGPRBlocks: 0
; VGPRBlocks: 1
; NumSGPRsForWavesPerEU: 14
; NumVGPRsForWavesPerEU: 24
; NamedBarCnt: 0
; Occupancy: 16
; WaveLimiterHint : 1
; COMPUTE_PGM_RSRC2:SCRATCH_EN: 0
; COMPUTE_PGM_RSRC2:USER_SGPR: 2
; COMPUTE_PGM_RSRC2:TRAP_HANDLER: 0
; COMPUTE_PGM_RSRC2:TGID_X_EN: 1
; COMPUTE_PGM_RSRC2:TGID_Y_EN: 1
; COMPUTE_PGM_RSRC2:TGID_Z_EN: 1
; COMPUTE_PGM_RSRC2:TIDIG_COMP_CNT: 1
	.section	.text._ZN9rocsolver6v33100L32unit_forward_substitution_kernelI19rocblas_complex_numIdEiPKPS3_EEvT0_S7_T1_S7_S7_llS8_S7_S7_ll,"axG",@progbits,_ZN9rocsolver6v33100L32unit_forward_substitution_kernelI19rocblas_complex_numIdEiPKPS3_EEvT0_S7_T1_S7_S7_llS8_S7_S7_ll,comdat
	.globl	_ZN9rocsolver6v33100L32unit_forward_substitution_kernelI19rocblas_complex_numIdEiPKPS3_EEvT0_S7_T1_S7_S7_llS8_S7_S7_ll ; -- Begin function _ZN9rocsolver6v33100L32unit_forward_substitution_kernelI19rocblas_complex_numIdEiPKPS3_EEvT0_S7_T1_S7_S7_llS8_S7_S7_ll
	.p2align	8
	.type	_ZN9rocsolver6v33100L32unit_forward_substitution_kernelI19rocblas_complex_numIdEiPKPS3_EEvT0_S7_T1_S7_S7_llS8_S7_S7_ll,@function
_ZN9rocsolver6v33100L32unit_forward_substitution_kernelI19rocblas_complex_numIdEiPKPS3_EEvT0_S7_T1_S7_S7_llS8_S7_S7_ll: ; @_ZN9rocsolver6v33100L32unit_forward_substitution_kernelI19rocblas_complex_numIdEiPKPS3_EEvT0_S7_T1_S7_S7_llS8_S7_S7_ll
; %bb.0:
	s_clause 0x1
	s_load_u16 s3, s[0:1], 0x56
	s_load_b64 s[8:9], s[0:1], 0x0
	s_bfe_u32 s2, ttmp6, 0x40010
	s_and_b32 s4, ttmp7, 0xffff
	s_add_co_i32 s2, s2, 1
	s_bfe_u32 s6, ttmp6, 0x40004
	s_mul_i32 s5, s4, s2
	s_getreg_b32 s2, hwreg(HW_REG_IB_STS2, 6, 4)
	v_bfe_u32 v6, v0, 10, 10
	s_add_co_i32 s6, s6, s5
	s_cmp_eq_u32 s2, 0
	s_cselect_b32 s4, s4, s6
	s_wait_kmcnt 0x0
	v_mad_u32 v1, s4, s3, v6
	s_mov_b32 s3, exec_lo
	s_delay_alu instid0(VALU_DEP_1)
	v_cmpx_gt_i32_e64 s9, v1
	s_cbranch_execz .LBB10_9
; %bb.1:
	s_load_b128 s[4:7], s[0:1], 0x28
	s_bfe_u32 s3, ttmp6, 0x40014
	s_lshr_b32 s9, ttmp7, 16
	s_add_co_i32 s3, s3, 1
	s_bfe_u32 s10, ttmp6, 0x40008
	s_mul_i32 s3, s9, s3
	v_and_b32_e32 v10, 0x3ff, v0
	s_add_co_i32 s10, s10, s3
	s_cmp_eq_u32 s2, 0
	s_cselect_b32 s9, s9, s10
	s_load_b64 s[2:3], s[0:1], 0x38
	s_wait_kmcnt 0x0
	s_load_b64 s[10:11], s[4:5], s9 offset:0x0 scale_offset
	v_mul_lo_u32 v0, s6, v10
	s_delay_alu instid0(VALU_DEP_1)
	v_mad_u32 v4, v1, s7, v0
	s_lshl_b64 s[2:3], s[2:3], 4
	s_cmp_lt_i32 s8, 2
	s_wait_kmcnt 0x0
	s_add_nc_u64 s[2:3], s[10:11], s[2:3]
	flat_load_b128 v[0:3], v4, s[2:3] scale_offset
	v_ashrrev_i32_e32 v5, 31, v4
	s_cbranch_scc1 .LBB10_8
; %bb.2:
	s_clause 0x1
	s_load_b128 s[4:7], s[0:1], 0x8
	s_load_b64 s[10:11], s[0:1], 0x18
	v_lshl_add_u32 v12, v6, 4, 0
	s_wait_kmcnt 0x0
	s_load_b64 s[0:1], s[4:5], s9 offset:0x0 scale_offset
	v_mul_lo_u32 v11, s6, v10
	s_lshl_b64 s[10:11], s[10:11], 4
	s_wait_xcnt 0x0
	s_mov_b32 s4, 0
	s_add_co_i32 s5, s8, -1
	s_wait_kmcnt 0x0
	s_add_nc_u64 s[0:1], s[0:1], s[10:11]
	s_branch .LBB10_4
.LBB10_3:                               ;   in Loop: Header=BB10_4 Depth=1
	s_or_b32 exec_lo, exec_lo, s6
	s_delay_alu instid0(VALU_DEP_2) | instskip(NEXT) | instid1(VALU_DEP_2)
	v_dual_add_f64 v[0:1], v[0:1], -v[8:9] :: v_dual_add_nc_u32 v11, s7, v11
	v_add_f64_e64 v[2:3], v[2:3], -v[6:7]
	s_add_co_i32 s4, s4, 1
	s_delay_alu instid0(SALU_CYCLE_1)
	s_cmp_eq_u32 s5, s4
	s_cbranch_scc1 .LBB10_8
.LBB10_4:                               ; =>This Inner Loop Header: Depth=1
	s_mov_b32 s6, exec_lo
	s_wait_loadcnt_dscnt 0x0
	s_barrier_signal -1
	s_barrier_wait -1
	v_cmpx_eq_u32_e64 s4, v10
; %bb.5:                                ;   in Loop: Header=BB10_4 Depth=1
	ds_store_2addr_b64 v12, v[0:1], v[2:3] offset1:1
; %bb.6:                                ;   in Loop: Header=BB10_4 Depth=1
	s_or_b32 exec_lo, exec_lo, s6
	v_mov_b64_e32 v[6:7], 0
	v_mov_b64_e32 v[8:9], 0
	s_mov_b32 s6, exec_lo
	s_wait_dscnt 0x0
	s_barrier_signal -1
	s_barrier_wait -1
	v_cmpx_lt_u32_e64 s4, v10
	s_cbranch_execz .LBB10_3
; %bb.7:                                ;   in Loop: Header=BB10_4 Depth=1
	flat_load_b128 v[14:17], v11, s[0:1] scale_offset
	ds_load_2addr_b64 v[18:21], v12 offset1:1
	s_wait_loadcnt_dscnt 0x0
	v_mul_f64_e32 v[8:9], v[20:21], v[16:17]
	v_mul_f64_e32 v[6:7], v[18:19], v[16:17]
	s_delay_alu instid0(VALU_DEP_2) | instskip(NEXT) | instid1(VALU_DEP_2)
	v_fma_f64 v[8:9], v[18:19], v[14:15], -v[8:9]
	v_fmac_f64_e32 v[6:7], v[20:21], v[14:15]
	s_branch .LBB10_3
.LBB10_8:
	s_wait_xcnt 0x0
	s_delay_alu instid0(VALU_DEP_1)
	v_lshl_add_u64 v[4:5], v[4:5], 4, s[2:3]
	s_wait_loadcnt_dscnt 0x0
	flat_store_b128 v[4:5], v[0:3]
.LBB10_9:
	s_endpgm
	.section	.rodata,"a",@progbits
	.p2align	6, 0x0
	.amdhsa_kernel _ZN9rocsolver6v33100L32unit_forward_substitution_kernelI19rocblas_complex_numIdEiPKPS3_EEvT0_S7_T1_S7_S7_llS8_S7_S7_ll
		.amdhsa_group_segment_fixed_size 0
		.amdhsa_private_segment_fixed_size 0
		.amdhsa_kernarg_size 328
		.amdhsa_user_sgpr_count 2
		.amdhsa_user_sgpr_dispatch_ptr 0
		.amdhsa_user_sgpr_queue_ptr 0
		.amdhsa_user_sgpr_kernarg_segment_ptr 1
		.amdhsa_user_sgpr_dispatch_id 0
		.amdhsa_user_sgpr_kernarg_preload_length 0
		.amdhsa_user_sgpr_kernarg_preload_offset 0
		.amdhsa_user_sgpr_private_segment_size 0
		.amdhsa_wavefront_size32 1
		.amdhsa_uses_dynamic_stack 0
		.amdhsa_enable_private_segment 0
		.amdhsa_system_sgpr_workgroup_id_x 1
		.amdhsa_system_sgpr_workgroup_id_y 1
		.amdhsa_system_sgpr_workgroup_id_z 1
		.amdhsa_system_sgpr_workgroup_info 0
		.amdhsa_system_vgpr_workitem_id 1
		.amdhsa_next_free_vgpr 22
		.amdhsa_next_free_sgpr 12
		.amdhsa_named_barrier_count 0
		.amdhsa_reserve_vcc 0
		.amdhsa_float_round_mode_32 0
		.amdhsa_float_round_mode_16_64 0
		.amdhsa_float_denorm_mode_32 3
		.amdhsa_float_denorm_mode_16_64 3
		.amdhsa_fp16_overflow 0
		.amdhsa_memory_ordered 1
		.amdhsa_forward_progress 1
		.amdhsa_inst_pref_size 5
		.amdhsa_round_robin_scheduling 0
		.amdhsa_exception_fp_ieee_invalid_op 0
		.amdhsa_exception_fp_denorm_src 0
		.amdhsa_exception_fp_ieee_div_zero 0
		.amdhsa_exception_fp_ieee_overflow 0
		.amdhsa_exception_fp_ieee_underflow 0
		.amdhsa_exception_fp_ieee_inexact 0
		.amdhsa_exception_int_div_zero 0
	.end_amdhsa_kernel
	.section	.text._ZN9rocsolver6v33100L32unit_forward_substitution_kernelI19rocblas_complex_numIdEiPKPS3_EEvT0_S7_T1_S7_S7_llS8_S7_S7_ll,"axG",@progbits,_ZN9rocsolver6v33100L32unit_forward_substitution_kernelI19rocblas_complex_numIdEiPKPS3_EEvT0_S7_T1_S7_S7_llS8_S7_S7_ll,comdat
.Lfunc_end10:
	.size	_ZN9rocsolver6v33100L32unit_forward_substitution_kernelI19rocblas_complex_numIdEiPKPS3_EEvT0_S7_T1_S7_S7_llS8_S7_S7_ll, .Lfunc_end10-_ZN9rocsolver6v33100L32unit_forward_substitution_kernelI19rocblas_complex_numIdEiPKPS3_EEvT0_S7_T1_S7_S7_llS8_S7_S7_ll
                                        ; -- End function
	.set _ZN9rocsolver6v33100L32unit_forward_substitution_kernelI19rocblas_complex_numIdEiPKPS3_EEvT0_S7_T1_S7_S7_llS8_S7_S7_ll.num_vgpr, 22
	.set _ZN9rocsolver6v33100L32unit_forward_substitution_kernelI19rocblas_complex_numIdEiPKPS3_EEvT0_S7_T1_S7_S7_llS8_S7_S7_ll.num_agpr, 0
	.set _ZN9rocsolver6v33100L32unit_forward_substitution_kernelI19rocblas_complex_numIdEiPKPS3_EEvT0_S7_T1_S7_S7_llS8_S7_S7_ll.numbered_sgpr, 12
	.set _ZN9rocsolver6v33100L32unit_forward_substitution_kernelI19rocblas_complex_numIdEiPKPS3_EEvT0_S7_T1_S7_S7_llS8_S7_S7_ll.num_named_barrier, 0
	.set _ZN9rocsolver6v33100L32unit_forward_substitution_kernelI19rocblas_complex_numIdEiPKPS3_EEvT0_S7_T1_S7_S7_llS8_S7_S7_ll.private_seg_size, 0
	.set _ZN9rocsolver6v33100L32unit_forward_substitution_kernelI19rocblas_complex_numIdEiPKPS3_EEvT0_S7_T1_S7_S7_llS8_S7_S7_ll.uses_vcc, 0
	.set _ZN9rocsolver6v33100L32unit_forward_substitution_kernelI19rocblas_complex_numIdEiPKPS3_EEvT0_S7_T1_S7_S7_llS8_S7_S7_ll.uses_flat_scratch, 0
	.set _ZN9rocsolver6v33100L32unit_forward_substitution_kernelI19rocblas_complex_numIdEiPKPS3_EEvT0_S7_T1_S7_S7_llS8_S7_S7_ll.has_dyn_sized_stack, 0
	.set _ZN9rocsolver6v33100L32unit_forward_substitution_kernelI19rocblas_complex_numIdEiPKPS3_EEvT0_S7_T1_S7_S7_llS8_S7_S7_ll.has_recursion, 0
	.set _ZN9rocsolver6v33100L32unit_forward_substitution_kernelI19rocblas_complex_numIdEiPKPS3_EEvT0_S7_T1_S7_S7_llS8_S7_S7_ll.has_indirect_call, 0
	.section	.AMDGPU.csdata,"",@progbits
; Kernel info:
; codeLenInByte = 520
; TotalNumSgprs: 12
; NumVgprs: 22
; ScratchSize: 0
; MemoryBound: 0
; FloatMode: 240
; IeeeMode: 1
; LDSByteSize: 0 bytes/workgroup (compile time only)
; SGPRBlocks: 0
; VGPRBlocks: 1
; NumSGPRsForWavesPerEU: 12
; NumVGPRsForWavesPerEU: 22
; NamedBarCnt: 0
; Occupancy: 16
; WaveLimiterHint : 1
; COMPUTE_PGM_RSRC2:SCRATCH_EN: 0
; COMPUTE_PGM_RSRC2:USER_SGPR: 2
; COMPUTE_PGM_RSRC2:TRAP_HANDLER: 0
; COMPUTE_PGM_RSRC2:TGID_X_EN: 1
; COMPUTE_PGM_RSRC2:TGID_Y_EN: 1
; COMPUTE_PGM_RSRC2:TGID_Z_EN: 1
; COMPUTE_PGM_RSRC2:TIDIG_COMP_CNT: 1
	.section	.text._ZN9rocsolver6v33100L35nonunit_forward_substitution_kernelI19rocblas_complex_numIdEiPKPS3_EEvT0_S7_T1_S7_S7_llS8_S7_S7_ll,"axG",@progbits,_ZN9rocsolver6v33100L35nonunit_forward_substitution_kernelI19rocblas_complex_numIdEiPKPS3_EEvT0_S7_T1_S7_S7_llS8_S7_S7_ll,comdat
	.globl	_ZN9rocsolver6v33100L35nonunit_forward_substitution_kernelI19rocblas_complex_numIdEiPKPS3_EEvT0_S7_T1_S7_S7_llS8_S7_S7_ll ; -- Begin function _ZN9rocsolver6v33100L35nonunit_forward_substitution_kernelI19rocblas_complex_numIdEiPKPS3_EEvT0_S7_T1_S7_S7_llS8_S7_S7_ll
	.p2align	8
	.type	_ZN9rocsolver6v33100L35nonunit_forward_substitution_kernelI19rocblas_complex_numIdEiPKPS3_EEvT0_S7_T1_S7_S7_llS8_S7_S7_ll,@function
_ZN9rocsolver6v33100L35nonunit_forward_substitution_kernelI19rocblas_complex_numIdEiPKPS3_EEvT0_S7_T1_S7_S7_llS8_S7_S7_ll: ; @_ZN9rocsolver6v33100L35nonunit_forward_substitution_kernelI19rocblas_complex_numIdEiPKPS3_EEvT0_S7_T1_S7_S7_llS8_S7_S7_ll
; %bb.0:
	s_clause 0x1
	s_load_u16 s3, s[0:1], 0x56
	s_load_b64 s[8:9], s[0:1], 0x0
	s_bfe_u32 s2, ttmp6, 0x40010
	s_and_b32 s4, ttmp7, 0xffff
	s_add_co_i32 s2, s2, 1
	s_bfe_u32 s6, ttmp6, 0x40004
	s_mul_i32 s5, s4, s2
	s_getreg_b32 s2, hwreg(HW_REG_IB_STS2, 6, 4)
	v_bfe_u32 v4, v0, 10, 10
	s_add_co_i32 s6, s6, s5
	s_cmp_eq_u32 s2, 0
	s_cselect_b32 s4, s4, s6
	s_wait_kmcnt 0x0
	v_mad_u32 v1, s4, s3, v4
	s_mov_b32 s3, exec_lo
	s_delay_alu instid0(VALU_DEP_1)
	v_cmpx_gt_i32_e64 s9, v1
	s_cbranch_execz .LBB11_19
; %bb.1:
	s_load_b128 s[4:7], s[0:1], 0x28
	s_bfe_u32 s3, ttmp6, 0x40014
	s_lshr_b32 s9, ttmp7, 16
	s_add_co_i32 s3, s3, 1
	s_bfe_u32 s10, ttmp6, 0x40008
	s_mul_i32 s3, s9, s3
	v_and_b32_e32 v12, 0x3ff, v0
	s_add_co_i32 s10, s10, s3
	s_cmp_eq_u32 s2, 0
	s_cselect_b32 s9, s9, s10
	s_load_b64 s[2:3], s[0:1], 0x38
	s_wait_kmcnt 0x0
	s_load_b64 s[10:11], s[4:5], s9 offset:0x0 scale_offset
	v_mul_lo_u32 v0, s6, v12
	s_delay_alu instid0(VALU_DEP_1)
	v_mad_u32 v8, v1, s7, v0
	s_lshl_b64 s[2:3], s[2:3], 4
	s_wait_kmcnt 0x0
	s_add_nc_u64 s[2:3], s[10:11], s[2:3]
	flat_load_b128 v[0:3], v8, s[2:3] scale_offset
	s_clause 0x1
	s_load_b128 s[4:7], s[0:1], 0x8
	s_load_b64 s[10:11], s[0:1], 0x18
	v_ashrrev_i32_e32 v9, 31, v8
	s_wait_kmcnt 0x0
	s_load_b64 s[0:1], s[4:5], s9 offset:0x0 scale_offset
	s_lshl_b64 s[10:11], s[10:11], 4
	s_wait_xcnt 0x0
	s_add_co_i32 s4, s8, -1
	s_cmp_lt_i32 s8, 2
	s_wait_kmcnt 0x0
	s_add_nc_u64 s[0:1], s[0:1], s[10:11]
	s_cbranch_scc1 .LBB11_12
; %bb.2:
	s_add_co_i32 s5, s7, s6
	v_mul_lo_u32 v13, s6, v12
	v_mul_lo_u32 v6, s5, v12
	v_lshl_add_u32 v14, v4, 4, 0
	s_mov_b32 s5, 0
	s_delay_alu instid0(VALU_DEP_2) | instskip(NEXT) | instid1(VALU_DEP_1)
	v_ashrrev_i32_e32 v7, 31, v6
	v_lshl_add_u64 v[10:11], v[6:7], 4, s[0:1]
	s_branch .LBB11_4
.LBB11_3:                               ;   in Loop: Header=BB11_4 Depth=1
	s_or_b32 exec_lo, exec_lo, s8
	s_delay_alu instid0(VALU_DEP_2) | instskip(NEXT) | instid1(VALU_DEP_2)
	v_dual_add_f64 v[0:1], v[0:1], -v[6:7] :: v_dual_add_nc_u32 v13, s7, v13
	v_add_f64_e64 v[2:3], v[2:3], -v[4:5]
	s_add_co_i32 s5, s5, 1
	s_delay_alu instid0(SALU_CYCLE_1)
	s_cmp_eq_u32 s4, s5
	s_cbranch_scc1 .LBB11_12
.LBB11_4:                               ; =>This Inner Loop Header: Depth=1
	s_mov_b32 s8, exec_lo
	s_wait_loadcnt_dscnt 0x0
	s_barrier_signal -1
	s_barrier_wait -1
	v_cmpx_eq_u32_e64 s5, v12
	s_cbranch_execz .LBB11_10
; %bb.5:                                ;   in Loop: Header=BB11_4 Depth=1
	flat_load_b128 v[4:7], v[10:11]
	s_wait_loadcnt_dscnt 0x0
	v_cmp_ngt_f64_e64 s9, |v[4:5]|, |v[6:7]|
	s_and_saveexec_b32 s10, s9
	s_delay_alu instid0(SALU_CYCLE_1)
	s_xor_b32 s9, exec_lo, s10
	s_cbranch_execz .LBB11_7
; %bb.6:                                ;   in Loop: Header=BB11_4 Depth=1
	v_div_scale_f64 v[16:17], null, v[6:7], v[6:7], v[4:5]
	v_div_scale_f64 v[22:23], vcc_lo, v[4:5], v[6:7], v[4:5]
	s_delay_alu instid0(VALU_DEP_2) | instskip(SKIP_1) | instid1(TRANS32_DEP_1)
	v_rcp_f64_e32 v[18:19], v[16:17]
	v_nop
	v_fma_f64 v[20:21], -v[16:17], v[18:19], 1.0
	s_delay_alu instid0(VALU_DEP_1) | instskip(NEXT) | instid1(VALU_DEP_1)
	v_fmac_f64_e32 v[18:19], v[18:19], v[20:21]
	v_fma_f64 v[20:21], -v[16:17], v[18:19], 1.0
	s_delay_alu instid0(VALU_DEP_1) | instskip(NEXT) | instid1(VALU_DEP_1)
	v_fmac_f64_e32 v[18:19], v[18:19], v[20:21]
	v_mul_f64_e32 v[20:21], v[22:23], v[18:19]
	s_delay_alu instid0(VALU_DEP_1) | instskip(NEXT) | instid1(VALU_DEP_1)
	v_fma_f64 v[16:17], -v[16:17], v[20:21], v[22:23]
	v_div_fmas_f64 v[16:17], v[16:17], v[18:19], v[20:21]
	s_delay_alu instid0(VALU_DEP_1) | instskip(NEXT) | instid1(VALU_DEP_1)
	v_div_fixup_f64 v[16:17], v[16:17], v[6:7], v[4:5]
	v_fmac_f64_e32 v[6:7], v[4:5], v[16:17]
	s_delay_alu instid0(VALU_DEP_1) | instskip(SKIP_1) | instid1(VALU_DEP_2)
	v_div_scale_f64 v[4:5], null, v[6:7], v[6:7], 1.0
	v_div_scale_f64 v[22:23], vcc_lo, 1.0, v[6:7], 1.0
	v_rcp_f64_e32 v[18:19], v[4:5]
	v_nop
	s_delay_alu instid0(TRANS32_DEP_1) | instskip(NEXT) | instid1(VALU_DEP_1)
	v_fma_f64 v[20:21], -v[4:5], v[18:19], 1.0
	v_fmac_f64_e32 v[18:19], v[18:19], v[20:21]
	s_delay_alu instid0(VALU_DEP_1) | instskip(NEXT) | instid1(VALU_DEP_1)
	v_fma_f64 v[20:21], -v[4:5], v[18:19], 1.0
	v_fmac_f64_e32 v[18:19], v[18:19], v[20:21]
	s_delay_alu instid0(VALU_DEP_1) | instskip(NEXT) | instid1(VALU_DEP_1)
	v_mul_f64_e32 v[20:21], v[22:23], v[18:19]
	v_fma_f64 v[4:5], -v[4:5], v[20:21], v[22:23]
	s_delay_alu instid0(VALU_DEP_1) | instskip(NEXT) | instid1(VALU_DEP_1)
	v_div_fmas_f64 v[4:5], v[4:5], v[18:19], v[20:21]
	v_div_fixup_f64 v[4:5], v[4:5], v[6:7], 1.0
	v_fma_f64 v[6:7], v[0:1], v[16:17], v[2:3]
	v_fma_f64 v[0:1], v[2:3], v[16:17], -v[0:1]
	s_delay_alu instid0(VALU_DEP_2) | instskip(NEXT) | instid1(VALU_DEP_2)
	v_mul_f64_e32 v[6:7], v[6:7], v[4:5]
	v_mul_f64_e32 v[2:3], v[0:1], v[4:5]
	s_delay_alu instid0(VALU_DEP_2)
	v_mov_b64_e32 v[0:1], v[6:7]
                                        ; implicit-def: $vgpr4_vgpr5
.LBB11_7:                               ;   in Loop: Header=BB11_4 Depth=1
	s_and_not1_saveexec_b32 s9, s9
	s_cbranch_execz .LBB11_9
; %bb.8:                                ;   in Loop: Header=BB11_4 Depth=1
	v_div_scale_f64 v[16:17], null, v[4:5], v[4:5], v[6:7]
	v_div_scale_f64 v[22:23], vcc_lo, v[6:7], v[4:5], v[6:7]
	s_delay_alu instid0(VALU_DEP_2) | instskip(SKIP_1) | instid1(TRANS32_DEP_1)
	v_rcp_f64_e32 v[18:19], v[16:17]
	v_nop
	v_fma_f64 v[20:21], -v[16:17], v[18:19], 1.0
	s_delay_alu instid0(VALU_DEP_1) | instskip(NEXT) | instid1(VALU_DEP_1)
	v_fmac_f64_e32 v[18:19], v[18:19], v[20:21]
	v_fma_f64 v[20:21], -v[16:17], v[18:19], 1.0
	s_delay_alu instid0(VALU_DEP_1) | instskip(NEXT) | instid1(VALU_DEP_1)
	v_fmac_f64_e32 v[18:19], v[18:19], v[20:21]
	v_mul_f64_e32 v[20:21], v[22:23], v[18:19]
	s_delay_alu instid0(VALU_DEP_1) | instskip(NEXT) | instid1(VALU_DEP_1)
	v_fma_f64 v[16:17], -v[16:17], v[20:21], v[22:23]
	v_div_fmas_f64 v[16:17], v[16:17], v[18:19], v[20:21]
	s_delay_alu instid0(VALU_DEP_1) | instskip(NEXT) | instid1(VALU_DEP_1)
	v_div_fixup_f64 v[16:17], v[16:17], v[4:5], v[6:7]
	v_fmac_f64_e32 v[4:5], v[6:7], v[16:17]
	s_delay_alu instid0(VALU_DEP_1) | instskip(SKIP_1) | instid1(VALU_DEP_2)
	v_div_scale_f64 v[6:7], null, v[4:5], v[4:5], 1.0
	v_div_scale_f64 v[22:23], vcc_lo, 1.0, v[4:5], 1.0
	v_rcp_f64_e32 v[18:19], v[6:7]
	v_nop
	s_delay_alu instid0(TRANS32_DEP_1) | instskip(NEXT) | instid1(VALU_DEP_1)
	v_fma_f64 v[20:21], -v[6:7], v[18:19], 1.0
	v_fmac_f64_e32 v[18:19], v[18:19], v[20:21]
	s_delay_alu instid0(VALU_DEP_1) | instskip(NEXT) | instid1(VALU_DEP_1)
	v_fma_f64 v[20:21], -v[6:7], v[18:19], 1.0
	v_fmac_f64_e32 v[18:19], v[18:19], v[20:21]
	s_delay_alu instid0(VALU_DEP_1) | instskip(NEXT) | instid1(VALU_DEP_1)
	v_mul_f64_e32 v[20:21], v[22:23], v[18:19]
	v_fma_f64 v[6:7], -v[6:7], v[20:21], v[22:23]
	s_delay_alu instid0(VALU_DEP_1) | instskip(NEXT) | instid1(VALU_DEP_1)
	v_div_fmas_f64 v[6:7], v[6:7], v[18:19], v[20:21]
	v_div_fixup_f64 v[4:5], v[6:7], v[4:5], 1.0
	v_fma_f64 v[6:7], v[2:3], v[16:17], v[0:1]
	v_fma_f64 v[0:1], -v[0:1], v[16:17], v[2:3]
	s_delay_alu instid0(VALU_DEP_2) | instskip(NEXT) | instid1(VALU_DEP_2)
	v_mul_f64_e32 v[6:7], v[6:7], v[4:5]
	v_mul_f64_e32 v[2:3], v[0:1], v[4:5]
	s_delay_alu instid0(VALU_DEP_2)
	v_mov_b64_e32 v[0:1], v[6:7]
.LBB11_9:                               ;   in Loop: Header=BB11_4 Depth=1
	s_or_b32 exec_lo, exec_lo, s9
	ds_store_2addr_b64 v14, v[0:1], v[2:3] offset1:1
.LBB11_10:                              ;   in Loop: Header=BB11_4 Depth=1
	s_or_b32 exec_lo, exec_lo, s8
	v_mov_b64_e32 v[4:5], 0
	v_mov_b64_e32 v[6:7], 0
	s_mov_b32 s8, exec_lo
	s_wait_dscnt 0x0
	s_barrier_signal -1
	s_barrier_wait -1
	v_cmpx_lt_u32_e64 s5, v12
	s_cbranch_execz .LBB11_3
; %bb.11:                               ;   in Loop: Header=BB11_4 Depth=1
	flat_load_b128 v[16:19], v13, s[0:1] scale_offset
	ds_load_2addr_b64 v[20:23], v14 offset1:1
	s_wait_loadcnt_dscnt 0x0
	v_mul_f64_e32 v[6:7], v[22:23], v[18:19]
	v_mul_f64_e32 v[4:5], v[20:21], v[18:19]
	s_delay_alu instid0(VALU_DEP_2) | instskip(NEXT) | instid1(VALU_DEP_2)
	v_fma_f64 v[6:7], v[20:21], v[16:17], -v[6:7]
	v_fmac_f64_e32 v[4:5], v[22:23], v[16:17]
	s_branch .LBB11_3
.LBB11_12:
	v_lshl_add_u64 v[8:9], v[8:9], 4, s[2:3]
	s_mov_b32 s2, exec_lo
	v_cmpx_eq_u32_e64 s4, v12
	s_cbranch_execz .LBB11_18
; %bb.13:
	s_add_co_i32 s3, s7, s6
	s_delay_alu instid0(SALU_CYCLE_1) | instskip(SKIP_4) | instid1(SALU_CYCLE_1)
	v_mul_lo_u32 v4, s3, v12
	flat_load_b128 v[4:7], v4, s[0:1] scale_offset
	s_wait_loadcnt_dscnt 0x0
	v_cmp_ngt_f64_e64 s0, |v[4:5]|, |v[6:7]|
	s_and_saveexec_b32 s1, s0
	s_xor_b32 s0, exec_lo, s1
	s_cbranch_execz .LBB11_15
; %bb.14:
	v_div_scale_f64 v[10:11], null, v[6:7], v[6:7], v[4:5]
	v_div_scale_f64 v[16:17], vcc_lo, v[4:5], v[6:7], v[4:5]
	s_delay_alu instid0(VALU_DEP_2) | instskip(SKIP_1) | instid1(TRANS32_DEP_1)
	v_rcp_f64_e32 v[12:13], v[10:11]
	v_nop
	v_fma_f64 v[14:15], -v[10:11], v[12:13], 1.0
	s_delay_alu instid0(VALU_DEP_1) | instskip(NEXT) | instid1(VALU_DEP_1)
	v_fmac_f64_e32 v[12:13], v[12:13], v[14:15]
	v_fma_f64 v[14:15], -v[10:11], v[12:13], 1.0
	s_delay_alu instid0(VALU_DEP_1) | instskip(NEXT) | instid1(VALU_DEP_1)
	v_fmac_f64_e32 v[12:13], v[12:13], v[14:15]
	v_mul_f64_e32 v[14:15], v[16:17], v[12:13]
	s_delay_alu instid0(VALU_DEP_1) | instskip(NEXT) | instid1(VALU_DEP_1)
	v_fma_f64 v[10:11], -v[10:11], v[14:15], v[16:17]
	v_div_fmas_f64 v[10:11], v[10:11], v[12:13], v[14:15]
	s_delay_alu instid0(VALU_DEP_1) | instskip(NEXT) | instid1(VALU_DEP_1)
	v_div_fixup_f64 v[10:11], v[10:11], v[6:7], v[4:5]
	v_fmac_f64_e32 v[6:7], v[4:5], v[10:11]
	s_delay_alu instid0(VALU_DEP_1) | instskip(SKIP_1) | instid1(VALU_DEP_2)
	v_div_scale_f64 v[4:5], null, v[6:7], v[6:7], 1.0
	v_div_scale_f64 v[16:17], vcc_lo, 1.0, v[6:7], 1.0
	v_rcp_f64_e32 v[12:13], v[4:5]
	v_nop
	s_delay_alu instid0(TRANS32_DEP_1) | instskip(NEXT) | instid1(VALU_DEP_1)
	v_fma_f64 v[14:15], -v[4:5], v[12:13], 1.0
	v_fmac_f64_e32 v[12:13], v[12:13], v[14:15]
	s_delay_alu instid0(VALU_DEP_1) | instskip(NEXT) | instid1(VALU_DEP_1)
	v_fma_f64 v[14:15], -v[4:5], v[12:13], 1.0
	v_fmac_f64_e32 v[12:13], v[12:13], v[14:15]
	s_delay_alu instid0(VALU_DEP_1) | instskip(NEXT) | instid1(VALU_DEP_1)
	v_mul_f64_e32 v[14:15], v[16:17], v[12:13]
	v_fma_f64 v[4:5], -v[4:5], v[14:15], v[16:17]
	s_delay_alu instid0(VALU_DEP_1) | instskip(NEXT) | instid1(VALU_DEP_1)
	v_div_fmas_f64 v[4:5], v[4:5], v[12:13], v[14:15]
	v_div_fixup_f64 v[4:5], v[4:5], v[6:7], 1.0
	v_fma_f64 v[6:7], v[0:1], v[10:11], v[2:3]
	v_fma_f64 v[0:1], v[2:3], v[10:11], -v[0:1]
	s_delay_alu instid0(VALU_DEP_2) | instskip(NEXT) | instid1(VALU_DEP_2)
	v_mul_f64_e32 v[6:7], v[6:7], v[4:5]
	v_mul_f64_e32 v[2:3], v[0:1], v[4:5]
	s_delay_alu instid0(VALU_DEP_2)
	v_mov_b64_e32 v[0:1], v[6:7]
                                        ; implicit-def: $vgpr4_vgpr5
.LBB11_15:
	s_and_not1_saveexec_b32 s0, s0
	s_cbranch_execz .LBB11_17
; %bb.16:
	v_div_scale_f64 v[10:11], null, v[4:5], v[4:5], v[6:7]
	v_div_scale_f64 v[16:17], vcc_lo, v[6:7], v[4:5], v[6:7]
	s_delay_alu instid0(VALU_DEP_2) | instskip(SKIP_1) | instid1(TRANS32_DEP_1)
	v_rcp_f64_e32 v[12:13], v[10:11]
	v_nop
	v_fma_f64 v[14:15], -v[10:11], v[12:13], 1.0
	s_delay_alu instid0(VALU_DEP_1) | instskip(NEXT) | instid1(VALU_DEP_1)
	v_fmac_f64_e32 v[12:13], v[12:13], v[14:15]
	v_fma_f64 v[14:15], -v[10:11], v[12:13], 1.0
	s_delay_alu instid0(VALU_DEP_1) | instskip(NEXT) | instid1(VALU_DEP_1)
	v_fmac_f64_e32 v[12:13], v[12:13], v[14:15]
	v_mul_f64_e32 v[14:15], v[16:17], v[12:13]
	s_delay_alu instid0(VALU_DEP_1) | instskip(NEXT) | instid1(VALU_DEP_1)
	v_fma_f64 v[10:11], -v[10:11], v[14:15], v[16:17]
	v_div_fmas_f64 v[10:11], v[10:11], v[12:13], v[14:15]
	s_delay_alu instid0(VALU_DEP_1) | instskip(NEXT) | instid1(VALU_DEP_1)
	v_div_fixup_f64 v[10:11], v[10:11], v[4:5], v[6:7]
	v_fmac_f64_e32 v[4:5], v[6:7], v[10:11]
	s_delay_alu instid0(VALU_DEP_1) | instskip(SKIP_1) | instid1(VALU_DEP_2)
	v_div_scale_f64 v[6:7], null, v[4:5], v[4:5], 1.0
	v_div_scale_f64 v[16:17], vcc_lo, 1.0, v[4:5], 1.0
	v_rcp_f64_e32 v[12:13], v[6:7]
	v_nop
	s_delay_alu instid0(TRANS32_DEP_1) | instskip(NEXT) | instid1(VALU_DEP_1)
	v_fma_f64 v[14:15], -v[6:7], v[12:13], 1.0
	v_fmac_f64_e32 v[12:13], v[12:13], v[14:15]
	s_delay_alu instid0(VALU_DEP_1) | instskip(NEXT) | instid1(VALU_DEP_1)
	v_fma_f64 v[14:15], -v[6:7], v[12:13], 1.0
	v_fmac_f64_e32 v[12:13], v[12:13], v[14:15]
	s_delay_alu instid0(VALU_DEP_1) | instskip(NEXT) | instid1(VALU_DEP_1)
	v_mul_f64_e32 v[14:15], v[16:17], v[12:13]
	v_fma_f64 v[6:7], -v[6:7], v[14:15], v[16:17]
	s_delay_alu instid0(VALU_DEP_1) | instskip(NEXT) | instid1(VALU_DEP_1)
	v_div_fmas_f64 v[6:7], v[6:7], v[12:13], v[14:15]
	v_div_fixup_f64 v[4:5], v[6:7], v[4:5], 1.0
	v_fma_f64 v[6:7], v[2:3], v[10:11], v[0:1]
	v_fma_f64 v[0:1], -v[0:1], v[10:11], v[2:3]
	s_delay_alu instid0(VALU_DEP_2) | instskip(NEXT) | instid1(VALU_DEP_2)
	v_mul_f64_e32 v[6:7], v[6:7], v[4:5]
	v_mul_f64_e32 v[2:3], v[0:1], v[4:5]
	s_delay_alu instid0(VALU_DEP_2)
	v_mov_b64_e32 v[0:1], v[6:7]
.LBB11_17:
	s_or_b32 exec_lo, exec_lo, s0
.LBB11_18:
	s_delay_alu instid0(SALU_CYCLE_1)
	s_or_b32 exec_lo, exec_lo, s2
	s_wait_loadcnt_dscnt 0x0
	flat_store_b128 v[8:9], v[0:3]
.LBB11_19:
	s_endpgm
	.section	.rodata,"a",@progbits
	.p2align	6, 0x0
	.amdhsa_kernel _ZN9rocsolver6v33100L35nonunit_forward_substitution_kernelI19rocblas_complex_numIdEiPKPS3_EEvT0_S7_T1_S7_S7_llS8_S7_S7_ll
		.amdhsa_group_segment_fixed_size 0
		.amdhsa_private_segment_fixed_size 0
		.amdhsa_kernarg_size 328
		.amdhsa_user_sgpr_count 2
		.amdhsa_user_sgpr_dispatch_ptr 0
		.amdhsa_user_sgpr_queue_ptr 0
		.amdhsa_user_sgpr_kernarg_segment_ptr 1
		.amdhsa_user_sgpr_dispatch_id 0
		.amdhsa_user_sgpr_kernarg_preload_length 0
		.amdhsa_user_sgpr_kernarg_preload_offset 0
		.amdhsa_user_sgpr_private_segment_size 0
		.amdhsa_wavefront_size32 1
		.amdhsa_uses_dynamic_stack 0
		.amdhsa_enable_private_segment 0
		.amdhsa_system_sgpr_workgroup_id_x 1
		.amdhsa_system_sgpr_workgroup_id_y 1
		.amdhsa_system_sgpr_workgroup_id_z 1
		.amdhsa_system_sgpr_workgroup_info 0
		.amdhsa_system_vgpr_workitem_id 1
		.amdhsa_next_free_vgpr 24
		.amdhsa_next_free_sgpr 12
		.amdhsa_named_barrier_count 0
		.amdhsa_reserve_vcc 1
		.amdhsa_float_round_mode_32 0
		.amdhsa_float_round_mode_16_64 0
		.amdhsa_float_denorm_mode_32 3
		.amdhsa_float_denorm_mode_16_64 3
		.amdhsa_fp16_overflow 0
		.amdhsa_memory_ordered 1
		.amdhsa_forward_progress 1
		.amdhsa_inst_pref_size 13
		.amdhsa_round_robin_scheduling 0
		.amdhsa_exception_fp_ieee_invalid_op 0
		.amdhsa_exception_fp_denorm_src 0
		.amdhsa_exception_fp_ieee_div_zero 0
		.amdhsa_exception_fp_ieee_overflow 0
		.amdhsa_exception_fp_ieee_underflow 0
		.amdhsa_exception_fp_ieee_inexact 0
		.amdhsa_exception_int_div_zero 0
	.end_amdhsa_kernel
	.section	.text._ZN9rocsolver6v33100L35nonunit_forward_substitution_kernelI19rocblas_complex_numIdEiPKPS3_EEvT0_S7_T1_S7_S7_llS8_S7_S7_ll,"axG",@progbits,_ZN9rocsolver6v33100L35nonunit_forward_substitution_kernelI19rocblas_complex_numIdEiPKPS3_EEvT0_S7_T1_S7_S7_llS8_S7_S7_ll,comdat
.Lfunc_end11:
	.size	_ZN9rocsolver6v33100L35nonunit_forward_substitution_kernelI19rocblas_complex_numIdEiPKPS3_EEvT0_S7_T1_S7_S7_llS8_S7_S7_ll, .Lfunc_end11-_ZN9rocsolver6v33100L35nonunit_forward_substitution_kernelI19rocblas_complex_numIdEiPKPS3_EEvT0_S7_T1_S7_S7_llS8_S7_S7_ll
                                        ; -- End function
	.set _ZN9rocsolver6v33100L35nonunit_forward_substitution_kernelI19rocblas_complex_numIdEiPKPS3_EEvT0_S7_T1_S7_S7_llS8_S7_S7_ll.num_vgpr, 24
	.set _ZN9rocsolver6v33100L35nonunit_forward_substitution_kernelI19rocblas_complex_numIdEiPKPS3_EEvT0_S7_T1_S7_S7_llS8_S7_S7_ll.num_agpr, 0
	.set _ZN9rocsolver6v33100L35nonunit_forward_substitution_kernelI19rocblas_complex_numIdEiPKPS3_EEvT0_S7_T1_S7_S7_llS8_S7_S7_ll.numbered_sgpr, 12
	.set _ZN9rocsolver6v33100L35nonunit_forward_substitution_kernelI19rocblas_complex_numIdEiPKPS3_EEvT0_S7_T1_S7_S7_llS8_S7_S7_ll.num_named_barrier, 0
	.set _ZN9rocsolver6v33100L35nonunit_forward_substitution_kernelI19rocblas_complex_numIdEiPKPS3_EEvT0_S7_T1_S7_S7_llS8_S7_S7_ll.private_seg_size, 0
	.set _ZN9rocsolver6v33100L35nonunit_forward_substitution_kernelI19rocblas_complex_numIdEiPKPS3_EEvT0_S7_T1_S7_S7_llS8_S7_S7_ll.uses_vcc, 1
	.set _ZN9rocsolver6v33100L35nonunit_forward_substitution_kernelI19rocblas_complex_numIdEiPKPS3_EEvT0_S7_T1_S7_S7_llS8_S7_S7_ll.uses_flat_scratch, 0
	.set _ZN9rocsolver6v33100L35nonunit_forward_substitution_kernelI19rocblas_complex_numIdEiPKPS3_EEvT0_S7_T1_S7_S7_llS8_S7_S7_ll.has_dyn_sized_stack, 0
	.set _ZN9rocsolver6v33100L35nonunit_forward_substitution_kernelI19rocblas_complex_numIdEiPKPS3_EEvT0_S7_T1_S7_S7_llS8_S7_S7_ll.has_recursion, 0
	.set _ZN9rocsolver6v33100L35nonunit_forward_substitution_kernelI19rocblas_complex_numIdEiPKPS3_EEvT0_S7_T1_S7_S7_llS8_S7_S7_ll.has_indirect_call, 0
	.section	.AMDGPU.csdata,"",@progbits
; Kernel info:
; codeLenInByte = 1612
; TotalNumSgprs: 14
; NumVgprs: 24
; ScratchSize: 0
; MemoryBound: 0
; FloatMode: 240
; IeeeMode: 1
; LDSByteSize: 0 bytes/workgroup (compile time only)
; SGPRBlocks: 0
; VGPRBlocks: 1
; NumSGPRsForWavesPerEU: 14
; NumVGPRsForWavesPerEU: 24
; NamedBarCnt: 0
; Occupancy: 16
; WaveLimiterHint : 1
; COMPUTE_PGM_RSRC2:SCRATCH_EN: 0
; COMPUTE_PGM_RSRC2:USER_SGPR: 2
; COMPUTE_PGM_RSRC2:TRAP_HANDLER: 0
; COMPUTE_PGM_RSRC2:TGID_X_EN: 1
; COMPUTE_PGM_RSRC2:TGID_Y_EN: 1
; COMPUTE_PGM_RSRC2:TGID_Z_EN: 1
; COMPUTE_PGM_RSRC2:TIDIG_COMP_CNT: 1
	.section	.text._ZN9rocsolver6v33100L38conj_unit_backward_substitution_kernelI19rocblas_complex_numIdEiPKPS3_EEvT0_S7_T1_S7_S7_llS8_S7_S7_ll,"axG",@progbits,_ZN9rocsolver6v33100L38conj_unit_backward_substitution_kernelI19rocblas_complex_numIdEiPKPS3_EEvT0_S7_T1_S7_S7_llS8_S7_S7_ll,comdat
	.globl	_ZN9rocsolver6v33100L38conj_unit_backward_substitution_kernelI19rocblas_complex_numIdEiPKPS3_EEvT0_S7_T1_S7_S7_llS8_S7_S7_ll ; -- Begin function _ZN9rocsolver6v33100L38conj_unit_backward_substitution_kernelI19rocblas_complex_numIdEiPKPS3_EEvT0_S7_T1_S7_S7_llS8_S7_S7_ll
	.p2align	8
	.type	_ZN9rocsolver6v33100L38conj_unit_backward_substitution_kernelI19rocblas_complex_numIdEiPKPS3_EEvT0_S7_T1_S7_S7_llS8_S7_S7_ll,@function
_ZN9rocsolver6v33100L38conj_unit_backward_substitution_kernelI19rocblas_complex_numIdEiPKPS3_EEvT0_S7_T1_S7_S7_llS8_S7_S7_ll: ; @_ZN9rocsolver6v33100L38conj_unit_backward_substitution_kernelI19rocblas_complex_numIdEiPKPS3_EEvT0_S7_T1_S7_S7_llS8_S7_S7_ll
; %bb.0:
	s_clause 0x1
	s_load_u16 s3, s[0:1], 0x56
	s_load_b64 s[8:9], s[0:1], 0x0
	s_bfe_u32 s2, ttmp6, 0x40010
	s_and_b32 s4, ttmp7, 0xffff
	s_add_co_i32 s2, s2, 1
	s_bfe_u32 s6, ttmp6, 0x40004
	s_mul_i32 s5, s4, s2
	s_getreg_b32 s2, hwreg(HW_REG_IB_STS2, 6, 4)
	v_bfe_u32 v6, v0, 10, 10
	s_add_co_i32 s6, s6, s5
	s_cmp_eq_u32 s2, 0
	s_cselect_b32 s4, s4, s6
	s_wait_kmcnt 0x0
	v_mad_u32 v1, s4, s3, v6
	s_mov_b32 s3, exec_lo
	s_delay_alu instid0(VALU_DEP_1)
	v_cmpx_gt_i32_e64 s9, v1
	s_cbranch_execz .LBB12_9
; %bb.1:
	s_load_b128 s[4:7], s[0:1], 0x28
	s_bfe_u32 s3, ttmp6, 0x40014
	s_lshr_b32 s9, ttmp7, 16
	s_add_co_i32 s3, s3, 1
	s_bfe_u32 s10, ttmp6, 0x40008
	s_mul_i32 s3, s9, s3
	v_and_b32_e32 v10, 0x3ff, v0
	s_add_co_i32 s10, s10, s3
	s_cmp_eq_u32 s2, 0
	s_cselect_b32 s9, s9, s10
	s_load_b64 s[2:3], s[0:1], 0x38
	s_wait_kmcnt 0x0
	s_load_b64 s[10:11], s[4:5], s9 offset:0x0 scale_offset
	v_mul_lo_u32 v0, s6, v10
	s_delay_alu instid0(VALU_DEP_1)
	v_mad_u32 v4, v1, s7, v0
	s_lshl_b64 s[2:3], s[2:3], 4
	s_cmp_lt_i32 s8, 2
	s_wait_kmcnt 0x0
	s_add_nc_u64 s[2:3], s[10:11], s[2:3]
	flat_load_b128 v[0:3], v4, s[2:3] scale_offset
	v_ashrrev_i32_e32 v5, 31, v4
	s_cbranch_scc1 .LBB12_8
; %bb.2:
	s_clause 0x1
	s_load_b128 s[4:7], s[0:1], 0x8
	s_load_b64 s[10:11], s[0:1], 0x18
	v_lshl_add_u32 v12, v6, 4, 0
	s_wait_kmcnt 0x0
	s_load_b64 s[0:1], s[4:5], s9 offset:0x0 scale_offset
	s_wait_xcnt 0x0
	s_add_co_i32 s4, s8, -1
	s_lshl_b64 s[8:9], s[10:11], 4
	s_mul_i32 s5, s7, s4
	s_delay_alu instid0(SALU_CYCLE_1)
	v_mad_u32 v11, s6, v10, s5
	s_wait_kmcnt 0x0
	s_add_nc_u64 s[0:1], s[0:1], s[8:9]
	s_branch .LBB12_4
.LBB12_3:                               ;   in Loop: Header=BB12_4 Depth=1
	s_or_b32 exec_lo, exec_lo, s5
	s_delay_alu instid0(VALU_DEP_2) | instskip(NEXT) | instid1(VALU_DEP_2)
	v_add_f64_e64 v[0:1], v[0:1], -v[6:7]
	v_add_f64_e64 v[2:3], v[2:3], -v[8:9]
	v_subrev_nc_u32_e32 v11, s7, v11
	s_add_co_i32 s5, s4, 1
	s_add_co_i32 s4, s4, -1
	s_cmp_lt_u32 s5, 3
	s_cbranch_scc1 .LBB12_8
.LBB12_4:                               ; =>This Inner Loop Header: Depth=1
	s_mov_b32 s5, exec_lo
	s_wait_loadcnt_dscnt 0x0
	s_barrier_signal -1
	s_barrier_wait -1
	v_cmpx_eq_u32_e64 s4, v10
; %bb.5:                                ;   in Loop: Header=BB12_4 Depth=1
	ds_store_2addr_b64 v12, v[0:1], v[2:3] offset1:1
; %bb.6:                                ;   in Loop: Header=BB12_4 Depth=1
	s_or_b32 exec_lo, exec_lo, s5
	v_mov_b64_e32 v[8:9], 0
	v_mov_b64_e32 v[6:7], 0
	s_mov_b32 s5, exec_lo
	s_wait_dscnt 0x0
	s_barrier_signal -1
	s_barrier_wait -1
	v_cmpx_gt_i32_e64 s4, v10
	s_cbranch_execz .LBB12_3
; %bb.7:                                ;   in Loop: Header=BB12_4 Depth=1
	flat_load_b128 v[14:17], v11, s[0:1] scale_offset
	ds_load_2addr_b64 v[18:21], v12 offset1:1
	s_wait_loadcnt_dscnt 0x0
	v_mul_f64_e32 v[6:7], v[16:17], v[20:21]
	v_mul_f64_e32 v[8:9], v[16:17], v[18:19]
	s_delay_alu instid0(VALU_DEP_2) | instskip(NEXT) | instid1(VALU_DEP_2)
	v_fmac_f64_e32 v[6:7], v[14:15], v[18:19]
	v_fma_f64 v[8:9], v[14:15], v[20:21], -v[8:9]
	s_branch .LBB12_3
.LBB12_8:
	s_wait_xcnt 0x0
	s_delay_alu instid0(VALU_DEP_1)
	v_lshl_add_u64 v[4:5], v[4:5], 4, s[2:3]
	s_wait_loadcnt_dscnt 0x0
	flat_store_b128 v[4:5], v[0:3]
.LBB12_9:
	s_endpgm
	.section	.rodata,"a",@progbits
	.p2align	6, 0x0
	.amdhsa_kernel _ZN9rocsolver6v33100L38conj_unit_backward_substitution_kernelI19rocblas_complex_numIdEiPKPS3_EEvT0_S7_T1_S7_S7_llS8_S7_S7_ll
		.amdhsa_group_segment_fixed_size 0
		.amdhsa_private_segment_fixed_size 0
		.amdhsa_kernarg_size 328
		.amdhsa_user_sgpr_count 2
		.amdhsa_user_sgpr_dispatch_ptr 0
		.amdhsa_user_sgpr_queue_ptr 0
		.amdhsa_user_sgpr_kernarg_segment_ptr 1
		.amdhsa_user_sgpr_dispatch_id 0
		.amdhsa_user_sgpr_kernarg_preload_length 0
		.amdhsa_user_sgpr_kernarg_preload_offset 0
		.amdhsa_user_sgpr_private_segment_size 0
		.amdhsa_wavefront_size32 1
		.amdhsa_uses_dynamic_stack 0
		.amdhsa_enable_private_segment 0
		.amdhsa_system_sgpr_workgroup_id_x 1
		.amdhsa_system_sgpr_workgroup_id_y 1
		.amdhsa_system_sgpr_workgroup_id_z 1
		.amdhsa_system_sgpr_workgroup_info 0
		.amdhsa_system_vgpr_workitem_id 1
		.amdhsa_next_free_vgpr 22
		.amdhsa_next_free_sgpr 12
		.amdhsa_named_barrier_count 0
		.amdhsa_reserve_vcc 0
		.amdhsa_float_round_mode_32 0
		.amdhsa_float_round_mode_16_64 0
		.amdhsa_float_denorm_mode_32 3
		.amdhsa_float_denorm_mode_16_64 3
		.amdhsa_fp16_overflow 0
		.amdhsa_memory_ordered 1
		.amdhsa_forward_progress 1
		.amdhsa_inst_pref_size 5
		.amdhsa_round_robin_scheduling 0
		.amdhsa_exception_fp_ieee_invalid_op 0
		.amdhsa_exception_fp_denorm_src 0
		.amdhsa_exception_fp_ieee_div_zero 0
		.amdhsa_exception_fp_ieee_overflow 0
		.amdhsa_exception_fp_ieee_underflow 0
		.amdhsa_exception_fp_ieee_inexact 0
		.amdhsa_exception_int_div_zero 0
	.end_amdhsa_kernel
	.section	.text._ZN9rocsolver6v33100L38conj_unit_backward_substitution_kernelI19rocblas_complex_numIdEiPKPS3_EEvT0_S7_T1_S7_S7_llS8_S7_S7_ll,"axG",@progbits,_ZN9rocsolver6v33100L38conj_unit_backward_substitution_kernelI19rocblas_complex_numIdEiPKPS3_EEvT0_S7_T1_S7_S7_llS8_S7_S7_ll,comdat
.Lfunc_end12:
	.size	_ZN9rocsolver6v33100L38conj_unit_backward_substitution_kernelI19rocblas_complex_numIdEiPKPS3_EEvT0_S7_T1_S7_S7_llS8_S7_S7_ll, .Lfunc_end12-_ZN9rocsolver6v33100L38conj_unit_backward_substitution_kernelI19rocblas_complex_numIdEiPKPS3_EEvT0_S7_T1_S7_S7_llS8_S7_S7_ll
                                        ; -- End function
	.set _ZN9rocsolver6v33100L38conj_unit_backward_substitution_kernelI19rocblas_complex_numIdEiPKPS3_EEvT0_S7_T1_S7_S7_llS8_S7_S7_ll.num_vgpr, 22
	.set _ZN9rocsolver6v33100L38conj_unit_backward_substitution_kernelI19rocblas_complex_numIdEiPKPS3_EEvT0_S7_T1_S7_S7_llS8_S7_S7_ll.num_agpr, 0
	.set _ZN9rocsolver6v33100L38conj_unit_backward_substitution_kernelI19rocblas_complex_numIdEiPKPS3_EEvT0_S7_T1_S7_S7_llS8_S7_S7_ll.numbered_sgpr, 12
	.set _ZN9rocsolver6v33100L38conj_unit_backward_substitution_kernelI19rocblas_complex_numIdEiPKPS3_EEvT0_S7_T1_S7_S7_llS8_S7_S7_ll.num_named_barrier, 0
	.set _ZN9rocsolver6v33100L38conj_unit_backward_substitution_kernelI19rocblas_complex_numIdEiPKPS3_EEvT0_S7_T1_S7_S7_llS8_S7_S7_ll.private_seg_size, 0
	.set _ZN9rocsolver6v33100L38conj_unit_backward_substitution_kernelI19rocblas_complex_numIdEiPKPS3_EEvT0_S7_T1_S7_S7_llS8_S7_S7_ll.uses_vcc, 0
	.set _ZN9rocsolver6v33100L38conj_unit_backward_substitution_kernelI19rocblas_complex_numIdEiPKPS3_EEvT0_S7_T1_S7_S7_llS8_S7_S7_ll.uses_flat_scratch, 0
	.set _ZN9rocsolver6v33100L38conj_unit_backward_substitution_kernelI19rocblas_complex_numIdEiPKPS3_EEvT0_S7_T1_S7_S7_llS8_S7_S7_ll.has_dyn_sized_stack, 0
	.set _ZN9rocsolver6v33100L38conj_unit_backward_substitution_kernelI19rocblas_complex_numIdEiPKPS3_EEvT0_S7_T1_S7_S7_llS8_S7_S7_ll.has_recursion, 0
	.set _ZN9rocsolver6v33100L38conj_unit_backward_substitution_kernelI19rocblas_complex_numIdEiPKPS3_EEvT0_S7_T1_S7_S7_llS8_S7_S7_ll.has_indirect_call, 0
	.section	.AMDGPU.csdata,"",@progbits
; Kernel info:
; codeLenInByte = 524
; TotalNumSgprs: 12
; NumVgprs: 22
; ScratchSize: 0
; MemoryBound: 0
; FloatMode: 240
; IeeeMode: 1
; LDSByteSize: 0 bytes/workgroup (compile time only)
; SGPRBlocks: 0
; VGPRBlocks: 1
; NumSGPRsForWavesPerEU: 12
; NumVGPRsForWavesPerEU: 22
; NamedBarCnt: 0
; Occupancy: 16
; WaveLimiterHint : 1
; COMPUTE_PGM_RSRC2:SCRATCH_EN: 0
; COMPUTE_PGM_RSRC2:USER_SGPR: 2
; COMPUTE_PGM_RSRC2:TRAP_HANDLER: 0
; COMPUTE_PGM_RSRC2:TGID_X_EN: 1
; COMPUTE_PGM_RSRC2:TGID_Y_EN: 1
; COMPUTE_PGM_RSRC2:TGID_Z_EN: 1
; COMPUTE_PGM_RSRC2:TIDIG_COMP_CNT: 1
	.section	.text._ZN9rocsolver6v33100L41conj_nonunit_backward_substitution_kernelI19rocblas_complex_numIdEiPKPS3_EEvT0_S7_T1_S7_S7_llS8_S7_S7_ll,"axG",@progbits,_ZN9rocsolver6v33100L41conj_nonunit_backward_substitution_kernelI19rocblas_complex_numIdEiPKPS3_EEvT0_S7_T1_S7_S7_llS8_S7_S7_ll,comdat
	.globl	_ZN9rocsolver6v33100L41conj_nonunit_backward_substitution_kernelI19rocblas_complex_numIdEiPKPS3_EEvT0_S7_T1_S7_S7_llS8_S7_S7_ll ; -- Begin function _ZN9rocsolver6v33100L41conj_nonunit_backward_substitution_kernelI19rocblas_complex_numIdEiPKPS3_EEvT0_S7_T1_S7_S7_llS8_S7_S7_ll
	.p2align	8
	.type	_ZN9rocsolver6v33100L41conj_nonunit_backward_substitution_kernelI19rocblas_complex_numIdEiPKPS3_EEvT0_S7_T1_S7_S7_llS8_S7_S7_ll,@function
_ZN9rocsolver6v33100L41conj_nonunit_backward_substitution_kernelI19rocblas_complex_numIdEiPKPS3_EEvT0_S7_T1_S7_S7_llS8_S7_S7_ll: ; @_ZN9rocsolver6v33100L41conj_nonunit_backward_substitution_kernelI19rocblas_complex_numIdEiPKPS3_EEvT0_S7_T1_S7_S7_llS8_S7_S7_ll
; %bb.0:
	s_clause 0x1
	s_load_u16 s3, s[0:1], 0x56
	s_load_b64 s[6:7], s[0:1], 0x0
	s_bfe_u32 s2, ttmp6, 0x40010
	s_and_b32 s4, ttmp7, 0xffff
	s_add_co_i32 s2, s2, 1
	s_bfe_u32 s8, ttmp6, 0x40004
	s_mul_i32 s5, s4, s2
	s_getreg_b32 s2, hwreg(HW_REG_IB_STS2, 6, 4)
	v_bfe_u32 v4, v0, 10, 10
	s_add_co_i32 s8, s8, s5
	s_cmp_eq_u32 s2, 0
	s_cselect_b32 s4, s4, s8
	s_wait_kmcnt 0x0
	v_mad_u32 v1, s4, s3, v4
	s_mov_b32 s3, exec_lo
	s_delay_alu instid0(VALU_DEP_1)
	v_cmpx_gt_i32_e64 s7, v1
	s_cbranch_execz .LBB13_19
; %bb.1:
	s_load_b128 s[8:11], s[0:1], 0x28
	s_bfe_u32 s3, ttmp6, 0x40014
	s_lshr_b32 s4, ttmp7, 16
	s_add_co_i32 s3, s3, 1
	s_bfe_u32 s5, ttmp6, 0x40008
	s_mul_i32 s3, s4, s3
	v_and_b32_e32 v12, 0x3ff, v0
	s_add_co_i32 s5, s5, s3
	s_cmp_eq_u32 s2, 0
	s_cselect_b32 s7, s4, s5
	s_load_b64 s[2:3], s[0:1], 0x38
	s_wait_kmcnt 0x0
	s_load_b64 s[4:5], s[8:9], s7 offset:0x0 scale_offset
	v_mul_lo_u32 v0, s10, v12
	s_delay_alu instid0(VALU_DEP_1)
	v_mad_u32 v8, v1, s11, v0
	s_lshl_b64 s[2:3], s[2:3], 4
	s_wait_kmcnt 0x0
	s_add_nc_u64 s[2:3], s[4:5], s[2:3]
	flat_load_b128 v[0:3], v8, s[2:3] scale_offset
	s_clause 0x1
	s_load_b64 s[4:5], s[0:1], 0x8
	s_load_b64 s[8:9], s[0:1], 0x18
	v_ashrrev_i32_e32 v9, 31, v8
	s_wait_kmcnt 0x0
	s_load_b64 s[4:5], s[4:5], s7 offset:0x0 scale_offset
	s_lshl_b64 s[8:9], s[8:9], 4
	s_cmp_lt_i32 s6, 2
	s_wait_kmcnt 0x0
	s_add_nc_u64 s[4:5], s[4:5], s[8:9]
	s_cbranch_scc1 .LBB13_12
; %bb.2:
	s_load_b64 s[0:1], s[0:1], 0x10
	s_add_co_i32 s6, s6, -1
	v_lshl_add_u32 v14, v4, 4, 0
	s_wait_kmcnt 0x0
	s_add_co_i32 s7, s1, s0
	s_delay_alu instid0(SALU_CYCLE_1) | instskip(SKIP_1) | instid1(SALU_CYCLE_1)
	v_mul_lo_u32 v6, s7, v12
	s_mul_i32 s7, s1, s6
	v_mad_u32 v13, s0, v12, s7
	s_delay_alu instid0(VALU_DEP_2) | instskip(NEXT) | instid1(VALU_DEP_1)
	v_ashrrev_i32_e32 v7, 31, v6
	v_lshl_add_u64 v[10:11], v[6:7], 4, s[4:5]
	s_branch .LBB13_4
.LBB13_3:                               ;   in Loop: Header=BB13_4 Depth=1
	s_or_b32 exec_lo, exec_lo, s0
	s_delay_alu instid0(VALU_DEP_2) | instskip(NEXT) | instid1(VALU_DEP_2)
	v_add_f64_e64 v[0:1], v[0:1], -v[4:5]
	v_add_f64_e64 v[2:3], v[2:3], -v[6:7]
	v_subrev_nc_u32_e32 v13, s1, v13
	s_add_co_i32 s0, s6, 1
	s_add_co_i32 s6, s6, -1
	s_cmp_lt_u32 s0, 3
	s_cbranch_scc1 .LBB13_12
.LBB13_4:                               ; =>This Inner Loop Header: Depth=1
	s_mov_b32 s0, exec_lo
	s_wait_loadcnt_dscnt 0x0
	s_barrier_signal -1
	s_barrier_wait -1
	v_cmpx_eq_u32_e64 s6, v12
	s_cbranch_execz .LBB13_10
; %bb.5:                                ;   in Loop: Header=BB13_4 Depth=1
	flat_load_b128 v[4:7], v[10:11]
	s_wait_loadcnt_dscnt 0x0
	v_cmp_ngt_f64_e64 s7, |v[4:5]|, |v[6:7]|
	s_and_saveexec_b32 s8, s7
	s_delay_alu instid0(SALU_CYCLE_1)
	s_xor_b32 s7, exec_lo, s8
	s_cbranch_execz .LBB13_7
; %bb.6:                                ;   in Loop: Header=BB13_4 Depth=1
	v_div_scale_f64 v[16:17], null, -v[6:7], -v[6:7], v[4:5]
	v_div_scale_f64 v[22:23], vcc_lo, v[4:5], -v[6:7], v[4:5]
	s_delay_alu instid0(VALU_DEP_2) | instskip(SKIP_1) | instid1(TRANS32_DEP_1)
	v_rcp_f64_e32 v[18:19], v[16:17]
	v_nop
	v_fma_f64 v[20:21], -v[16:17], v[18:19], 1.0
	s_delay_alu instid0(VALU_DEP_1) | instskip(NEXT) | instid1(VALU_DEP_1)
	v_fmac_f64_e32 v[18:19], v[18:19], v[20:21]
	v_fma_f64 v[20:21], -v[16:17], v[18:19], 1.0
	s_delay_alu instid0(VALU_DEP_1) | instskip(NEXT) | instid1(VALU_DEP_1)
	v_fmac_f64_e32 v[18:19], v[18:19], v[20:21]
	v_mul_f64_e32 v[20:21], v[22:23], v[18:19]
	s_delay_alu instid0(VALU_DEP_1) | instskip(NEXT) | instid1(VALU_DEP_1)
	v_fma_f64 v[16:17], -v[16:17], v[20:21], v[22:23]
	v_div_fmas_f64 v[16:17], v[16:17], v[18:19], v[20:21]
	s_delay_alu instid0(VALU_DEP_1) | instskip(NEXT) | instid1(VALU_DEP_1)
	v_div_fixup_f64 v[16:17], v[16:17], -v[6:7], v[4:5]
	v_fma_f64 v[4:5], v[4:5], v[16:17], -v[6:7]
	s_delay_alu instid0(VALU_DEP_1) | instskip(SKIP_1) | instid1(VALU_DEP_2)
	v_div_scale_f64 v[6:7], null, v[4:5], v[4:5], 1.0
	v_div_scale_f64 v[22:23], vcc_lo, 1.0, v[4:5], 1.0
	v_rcp_f64_e32 v[18:19], v[6:7]
	v_nop
	s_delay_alu instid0(TRANS32_DEP_1) | instskip(NEXT) | instid1(VALU_DEP_1)
	v_fma_f64 v[20:21], -v[6:7], v[18:19], 1.0
	v_fmac_f64_e32 v[18:19], v[18:19], v[20:21]
	s_delay_alu instid0(VALU_DEP_1) | instskip(NEXT) | instid1(VALU_DEP_1)
	v_fma_f64 v[20:21], -v[6:7], v[18:19], 1.0
	v_fmac_f64_e32 v[18:19], v[18:19], v[20:21]
	s_delay_alu instid0(VALU_DEP_1) | instskip(NEXT) | instid1(VALU_DEP_1)
	v_mul_f64_e32 v[20:21], v[22:23], v[18:19]
	v_fma_f64 v[6:7], -v[6:7], v[20:21], v[22:23]
	s_delay_alu instid0(VALU_DEP_1) | instskip(NEXT) | instid1(VALU_DEP_1)
	v_div_fmas_f64 v[6:7], v[6:7], v[18:19], v[20:21]
	v_div_fixup_f64 v[4:5], v[6:7], v[4:5], 1.0
	v_fma_f64 v[6:7], v[0:1], v[16:17], v[2:3]
	v_fma_f64 v[0:1], v[2:3], v[16:17], -v[0:1]
	s_delay_alu instid0(VALU_DEP_2) | instskip(NEXT) | instid1(VALU_DEP_2)
	v_mul_f64_e32 v[6:7], v[6:7], v[4:5]
	v_mul_f64_e32 v[2:3], v[0:1], v[4:5]
	s_delay_alu instid0(VALU_DEP_2)
	v_mov_b64_e32 v[0:1], v[6:7]
                                        ; implicit-def: $vgpr4_vgpr5
.LBB13_7:                               ;   in Loop: Header=BB13_4 Depth=1
	s_and_not1_saveexec_b32 s7, s7
	s_cbranch_execz .LBB13_9
; %bb.8:                                ;   in Loop: Header=BB13_4 Depth=1
	v_div_scale_f64 v[16:17], null, v[4:5], v[4:5], -v[6:7]
	v_div_scale_f64 v[22:23], vcc_lo, -v[6:7], v[4:5], -v[6:7]
	s_delay_alu instid0(VALU_DEP_2) | instskip(SKIP_1) | instid1(TRANS32_DEP_1)
	v_rcp_f64_e32 v[18:19], v[16:17]
	v_nop
	v_fma_f64 v[20:21], -v[16:17], v[18:19], 1.0
	s_delay_alu instid0(VALU_DEP_1) | instskip(NEXT) | instid1(VALU_DEP_1)
	v_fmac_f64_e32 v[18:19], v[18:19], v[20:21]
	v_fma_f64 v[20:21], -v[16:17], v[18:19], 1.0
	s_delay_alu instid0(VALU_DEP_1) | instskip(NEXT) | instid1(VALU_DEP_1)
	v_fmac_f64_e32 v[18:19], v[18:19], v[20:21]
	v_mul_f64_e32 v[20:21], v[22:23], v[18:19]
	s_delay_alu instid0(VALU_DEP_1) | instskip(NEXT) | instid1(VALU_DEP_1)
	v_fma_f64 v[16:17], -v[16:17], v[20:21], v[22:23]
	v_div_fmas_f64 v[16:17], v[16:17], v[18:19], v[20:21]
	s_delay_alu instid0(VALU_DEP_1) | instskip(NEXT) | instid1(VALU_DEP_1)
	v_div_fixup_f64 v[16:17], v[16:17], v[4:5], -v[6:7]
	v_fma_f64 v[4:5], -v[6:7], v[16:17], v[4:5]
	s_delay_alu instid0(VALU_DEP_1) | instskip(SKIP_1) | instid1(VALU_DEP_2)
	v_div_scale_f64 v[6:7], null, v[4:5], v[4:5], 1.0
	v_div_scale_f64 v[22:23], vcc_lo, 1.0, v[4:5], 1.0
	v_rcp_f64_e32 v[18:19], v[6:7]
	v_nop
	s_delay_alu instid0(TRANS32_DEP_1) | instskip(NEXT) | instid1(VALU_DEP_1)
	v_fma_f64 v[20:21], -v[6:7], v[18:19], 1.0
	v_fmac_f64_e32 v[18:19], v[18:19], v[20:21]
	s_delay_alu instid0(VALU_DEP_1) | instskip(NEXT) | instid1(VALU_DEP_1)
	v_fma_f64 v[20:21], -v[6:7], v[18:19], 1.0
	v_fmac_f64_e32 v[18:19], v[18:19], v[20:21]
	s_delay_alu instid0(VALU_DEP_1) | instskip(NEXT) | instid1(VALU_DEP_1)
	v_mul_f64_e32 v[20:21], v[22:23], v[18:19]
	v_fma_f64 v[6:7], -v[6:7], v[20:21], v[22:23]
	s_delay_alu instid0(VALU_DEP_1) | instskip(NEXT) | instid1(VALU_DEP_1)
	v_div_fmas_f64 v[6:7], v[6:7], v[18:19], v[20:21]
	v_div_fixup_f64 v[4:5], v[6:7], v[4:5], 1.0
	v_fma_f64 v[6:7], v[2:3], v[16:17], v[0:1]
	v_fma_f64 v[0:1], -v[0:1], v[16:17], v[2:3]
	s_delay_alu instid0(VALU_DEP_2) | instskip(NEXT) | instid1(VALU_DEP_2)
	v_mul_f64_e32 v[6:7], v[6:7], v[4:5]
	v_mul_f64_e32 v[2:3], v[0:1], v[4:5]
	s_delay_alu instid0(VALU_DEP_2)
	v_mov_b64_e32 v[0:1], v[6:7]
.LBB13_9:                               ;   in Loop: Header=BB13_4 Depth=1
	s_or_b32 exec_lo, exec_lo, s7
	ds_store_2addr_b64 v14, v[0:1], v[2:3] offset1:1
.LBB13_10:                              ;   in Loop: Header=BB13_4 Depth=1
	s_or_b32 exec_lo, exec_lo, s0
	v_mov_b64_e32 v[4:5], 0
	v_mov_b64_e32 v[6:7], 0
	s_mov_b32 s0, exec_lo
	s_wait_dscnt 0x0
	s_barrier_signal -1
	s_barrier_wait -1
	v_cmpx_gt_i32_e64 s6, v12
	s_cbranch_execz .LBB13_3
; %bb.11:                               ;   in Loop: Header=BB13_4 Depth=1
	flat_load_b128 v[16:19], v13, s[4:5] scale_offset
	ds_load_2addr_b64 v[20:23], v14 offset1:1
	s_wait_loadcnt_dscnt 0x0
	v_mul_f64_e32 v[4:5], v[18:19], v[22:23]
	v_mul_f64_e32 v[6:7], v[18:19], v[20:21]
	s_delay_alu instid0(VALU_DEP_2) | instskip(NEXT) | instid1(VALU_DEP_2)
	v_fmac_f64_e32 v[4:5], v[16:17], v[20:21]
	v_fma_f64 v[6:7], v[16:17], v[22:23], -v[6:7]
	s_branch .LBB13_3
.LBB13_12:
	v_lshl_add_u64 v[8:9], v[8:9], 4, s[2:3]
	s_mov_b32 s0, exec_lo
	v_cmpx_eq_u32_e32 0, v12
	s_cbranch_execz .LBB13_18
; %bb.13:
	v_mov_b32_e32 v4, 0
	flat_load_b128 v[4:7], v4, s[4:5]
	s_wait_loadcnt_dscnt 0x0
	v_cmp_ngt_f64_e64 s1, |v[4:5]|, |v[6:7]|
	s_and_saveexec_b32 s2, s1
	s_delay_alu instid0(SALU_CYCLE_1)
	s_xor_b32 s1, exec_lo, s2
	s_cbranch_execz .LBB13_15
; %bb.14:
	v_div_scale_f64 v[10:11], null, -v[6:7], -v[6:7], v[4:5]
	v_div_scale_f64 v[16:17], vcc_lo, v[4:5], -v[6:7], v[4:5]
	s_delay_alu instid0(VALU_DEP_2) | instskip(SKIP_1) | instid1(TRANS32_DEP_1)
	v_rcp_f64_e32 v[12:13], v[10:11]
	v_nop
	v_fma_f64 v[14:15], -v[10:11], v[12:13], 1.0
	s_delay_alu instid0(VALU_DEP_1) | instskip(NEXT) | instid1(VALU_DEP_1)
	v_fmac_f64_e32 v[12:13], v[12:13], v[14:15]
	v_fma_f64 v[14:15], -v[10:11], v[12:13], 1.0
	s_delay_alu instid0(VALU_DEP_1) | instskip(NEXT) | instid1(VALU_DEP_1)
	v_fmac_f64_e32 v[12:13], v[12:13], v[14:15]
	v_mul_f64_e32 v[14:15], v[16:17], v[12:13]
	s_delay_alu instid0(VALU_DEP_1) | instskip(NEXT) | instid1(VALU_DEP_1)
	v_fma_f64 v[10:11], -v[10:11], v[14:15], v[16:17]
	v_div_fmas_f64 v[10:11], v[10:11], v[12:13], v[14:15]
	s_delay_alu instid0(VALU_DEP_1) | instskip(NEXT) | instid1(VALU_DEP_1)
	v_div_fixup_f64 v[10:11], v[10:11], -v[6:7], v[4:5]
	v_fma_f64 v[4:5], v[4:5], v[10:11], -v[6:7]
	s_delay_alu instid0(VALU_DEP_1) | instskip(SKIP_1) | instid1(VALU_DEP_2)
	v_div_scale_f64 v[6:7], null, v[4:5], v[4:5], 1.0
	v_div_scale_f64 v[16:17], vcc_lo, 1.0, v[4:5], 1.0
	v_rcp_f64_e32 v[12:13], v[6:7]
	v_nop
	s_delay_alu instid0(TRANS32_DEP_1) | instskip(NEXT) | instid1(VALU_DEP_1)
	v_fma_f64 v[14:15], -v[6:7], v[12:13], 1.0
	v_fmac_f64_e32 v[12:13], v[12:13], v[14:15]
	s_delay_alu instid0(VALU_DEP_1) | instskip(NEXT) | instid1(VALU_DEP_1)
	v_fma_f64 v[14:15], -v[6:7], v[12:13], 1.0
	v_fmac_f64_e32 v[12:13], v[12:13], v[14:15]
	s_delay_alu instid0(VALU_DEP_1) | instskip(NEXT) | instid1(VALU_DEP_1)
	v_mul_f64_e32 v[14:15], v[16:17], v[12:13]
	v_fma_f64 v[6:7], -v[6:7], v[14:15], v[16:17]
	s_delay_alu instid0(VALU_DEP_1) | instskip(NEXT) | instid1(VALU_DEP_1)
	v_div_fmas_f64 v[6:7], v[6:7], v[12:13], v[14:15]
	v_div_fixup_f64 v[4:5], v[6:7], v[4:5], 1.0
	v_fma_f64 v[6:7], v[0:1], v[10:11], v[2:3]
	v_fma_f64 v[0:1], v[2:3], v[10:11], -v[0:1]
	s_delay_alu instid0(VALU_DEP_2) | instskip(NEXT) | instid1(VALU_DEP_2)
	v_mul_f64_e32 v[6:7], v[6:7], v[4:5]
	v_mul_f64_e32 v[2:3], v[0:1], v[4:5]
	s_delay_alu instid0(VALU_DEP_2)
	v_mov_b64_e32 v[0:1], v[6:7]
                                        ; implicit-def: $vgpr4_vgpr5
.LBB13_15:
	s_and_not1_saveexec_b32 s1, s1
	s_cbranch_execz .LBB13_17
; %bb.16:
	v_div_scale_f64 v[10:11], null, v[4:5], v[4:5], -v[6:7]
	v_div_scale_f64 v[16:17], vcc_lo, -v[6:7], v[4:5], -v[6:7]
	s_delay_alu instid0(VALU_DEP_2) | instskip(SKIP_1) | instid1(TRANS32_DEP_1)
	v_rcp_f64_e32 v[12:13], v[10:11]
	v_nop
	v_fma_f64 v[14:15], -v[10:11], v[12:13], 1.0
	s_delay_alu instid0(VALU_DEP_1) | instskip(NEXT) | instid1(VALU_DEP_1)
	v_fmac_f64_e32 v[12:13], v[12:13], v[14:15]
	v_fma_f64 v[14:15], -v[10:11], v[12:13], 1.0
	s_delay_alu instid0(VALU_DEP_1) | instskip(NEXT) | instid1(VALU_DEP_1)
	v_fmac_f64_e32 v[12:13], v[12:13], v[14:15]
	v_mul_f64_e32 v[14:15], v[16:17], v[12:13]
	s_delay_alu instid0(VALU_DEP_1) | instskip(NEXT) | instid1(VALU_DEP_1)
	v_fma_f64 v[10:11], -v[10:11], v[14:15], v[16:17]
	v_div_fmas_f64 v[10:11], v[10:11], v[12:13], v[14:15]
	s_delay_alu instid0(VALU_DEP_1) | instskip(NEXT) | instid1(VALU_DEP_1)
	v_div_fixup_f64 v[10:11], v[10:11], v[4:5], -v[6:7]
	v_fma_f64 v[4:5], -v[6:7], v[10:11], v[4:5]
	s_delay_alu instid0(VALU_DEP_1) | instskip(SKIP_1) | instid1(VALU_DEP_2)
	v_div_scale_f64 v[6:7], null, v[4:5], v[4:5], 1.0
	v_div_scale_f64 v[16:17], vcc_lo, 1.0, v[4:5], 1.0
	v_rcp_f64_e32 v[12:13], v[6:7]
	v_nop
	s_delay_alu instid0(TRANS32_DEP_1) | instskip(NEXT) | instid1(VALU_DEP_1)
	v_fma_f64 v[14:15], -v[6:7], v[12:13], 1.0
	v_fmac_f64_e32 v[12:13], v[12:13], v[14:15]
	s_delay_alu instid0(VALU_DEP_1) | instskip(NEXT) | instid1(VALU_DEP_1)
	v_fma_f64 v[14:15], -v[6:7], v[12:13], 1.0
	v_fmac_f64_e32 v[12:13], v[12:13], v[14:15]
	s_delay_alu instid0(VALU_DEP_1) | instskip(NEXT) | instid1(VALU_DEP_1)
	v_mul_f64_e32 v[14:15], v[16:17], v[12:13]
	v_fma_f64 v[6:7], -v[6:7], v[14:15], v[16:17]
	s_delay_alu instid0(VALU_DEP_1) | instskip(NEXT) | instid1(VALU_DEP_1)
	v_div_fmas_f64 v[6:7], v[6:7], v[12:13], v[14:15]
	v_div_fixup_f64 v[4:5], v[6:7], v[4:5], 1.0
	v_fma_f64 v[6:7], v[2:3], v[10:11], v[0:1]
	v_fma_f64 v[0:1], -v[0:1], v[10:11], v[2:3]
	s_delay_alu instid0(VALU_DEP_2) | instskip(NEXT) | instid1(VALU_DEP_2)
	v_mul_f64_e32 v[6:7], v[6:7], v[4:5]
	v_mul_f64_e32 v[2:3], v[0:1], v[4:5]
	s_delay_alu instid0(VALU_DEP_2)
	v_mov_b64_e32 v[0:1], v[6:7]
.LBB13_17:
	s_or_b32 exec_lo, exec_lo, s1
.LBB13_18:
	s_delay_alu instid0(SALU_CYCLE_1)
	s_or_b32 exec_lo, exec_lo, s0
	s_wait_loadcnt_dscnt 0x0
	flat_store_b128 v[8:9], v[0:3]
.LBB13_19:
	s_endpgm
	.section	.rodata,"a",@progbits
	.p2align	6, 0x0
	.amdhsa_kernel _ZN9rocsolver6v33100L41conj_nonunit_backward_substitution_kernelI19rocblas_complex_numIdEiPKPS3_EEvT0_S7_T1_S7_S7_llS8_S7_S7_ll
		.amdhsa_group_segment_fixed_size 0
		.amdhsa_private_segment_fixed_size 0
		.amdhsa_kernarg_size 328
		.amdhsa_user_sgpr_count 2
		.amdhsa_user_sgpr_dispatch_ptr 0
		.amdhsa_user_sgpr_queue_ptr 0
		.amdhsa_user_sgpr_kernarg_segment_ptr 1
		.amdhsa_user_sgpr_dispatch_id 0
		.amdhsa_user_sgpr_kernarg_preload_length 0
		.amdhsa_user_sgpr_kernarg_preload_offset 0
		.amdhsa_user_sgpr_private_segment_size 0
		.amdhsa_wavefront_size32 1
		.amdhsa_uses_dynamic_stack 0
		.amdhsa_enable_private_segment 0
		.amdhsa_system_sgpr_workgroup_id_x 1
		.amdhsa_system_sgpr_workgroup_id_y 1
		.amdhsa_system_sgpr_workgroup_id_z 1
		.amdhsa_system_sgpr_workgroup_info 0
		.amdhsa_system_vgpr_workitem_id 1
		.amdhsa_next_free_vgpr 24
		.amdhsa_next_free_sgpr 12
		.amdhsa_named_barrier_count 0
		.amdhsa_reserve_vcc 1
		.amdhsa_float_round_mode_32 0
		.amdhsa_float_round_mode_16_64 0
		.amdhsa_float_denorm_mode_32 3
		.amdhsa_float_denorm_mode_16_64 3
		.amdhsa_fp16_overflow 0
		.amdhsa_memory_ordered 1
		.amdhsa_forward_progress 1
		.amdhsa_inst_pref_size 13
		.amdhsa_round_robin_scheduling 0
		.amdhsa_exception_fp_ieee_invalid_op 0
		.amdhsa_exception_fp_denorm_src 0
		.amdhsa_exception_fp_ieee_div_zero 0
		.amdhsa_exception_fp_ieee_overflow 0
		.amdhsa_exception_fp_ieee_underflow 0
		.amdhsa_exception_fp_ieee_inexact 0
		.amdhsa_exception_int_div_zero 0
	.end_amdhsa_kernel
	.section	.text._ZN9rocsolver6v33100L41conj_nonunit_backward_substitution_kernelI19rocblas_complex_numIdEiPKPS3_EEvT0_S7_T1_S7_S7_llS8_S7_S7_ll,"axG",@progbits,_ZN9rocsolver6v33100L41conj_nonunit_backward_substitution_kernelI19rocblas_complex_numIdEiPKPS3_EEvT0_S7_T1_S7_S7_llS8_S7_S7_ll,comdat
.Lfunc_end13:
	.size	_ZN9rocsolver6v33100L41conj_nonunit_backward_substitution_kernelI19rocblas_complex_numIdEiPKPS3_EEvT0_S7_T1_S7_S7_llS8_S7_S7_ll, .Lfunc_end13-_ZN9rocsolver6v33100L41conj_nonunit_backward_substitution_kernelI19rocblas_complex_numIdEiPKPS3_EEvT0_S7_T1_S7_S7_llS8_S7_S7_ll
                                        ; -- End function
	.set _ZN9rocsolver6v33100L41conj_nonunit_backward_substitution_kernelI19rocblas_complex_numIdEiPKPS3_EEvT0_S7_T1_S7_S7_llS8_S7_S7_ll.num_vgpr, 24
	.set _ZN9rocsolver6v33100L41conj_nonunit_backward_substitution_kernelI19rocblas_complex_numIdEiPKPS3_EEvT0_S7_T1_S7_S7_llS8_S7_S7_ll.num_agpr, 0
	.set _ZN9rocsolver6v33100L41conj_nonunit_backward_substitution_kernelI19rocblas_complex_numIdEiPKPS3_EEvT0_S7_T1_S7_S7_llS8_S7_S7_ll.numbered_sgpr, 12
	.set _ZN9rocsolver6v33100L41conj_nonunit_backward_substitution_kernelI19rocblas_complex_numIdEiPKPS3_EEvT0_S7_T1_S7_S7_llS8_S7_S7_ll.num_named_barrier, 0
	.set _ZN9rocsolver6v33100L41conj_nonunit_backward_substitution_kernelI19rocblas_complex_numIdEiPKPS3_EEvT0_S7_T1_S7_S7_llS8_S7_S7_ll.private_seg_size, 0
	.set _ZN9rocsolver6v33100L41conj_nonunit_backward_substitution_kernelI19rocblas_complex_numIdEiPKPS3_EEvT0_S7_T1_S7_S7_llS8_S7_S7_ll.uses_vcc, 1
	.set _ZN9rocsolver6v33100L41conj_nonunit_backward_substitution_kernelI19rocblas_complex_numIdEiPKPS3_EEvT0_S7_T1_S7_S7_llS8_S7_S7_ll.uses_flat_scratch, 0
	.set _ZN9rocsolver6v33100L41conj_nonunit_backward_substitution_kernelI19rocblas_complex_numIdEiPKPS3_EEvT0_S7_T1_S7_S7_llS8_S7_S7_ll.has_dyn_sized_stack, 0
	.set _ZN9rocsolver6v33100L41conj_nonunit_backward_substitution_kernelI19rocblas_complex_numIdEiPKPS3_EEvT0_S7_T1_S7_S7_llS8_S7_S7_ll.has_recursion, 0
	.set _ZN9rocsolver6v33100L41conj_nonunit_backward_substitution_kernelI19rocblas_complex_numIdEiPKPS3_EEvT0_S7_T1_S7_S7_llS8_S7_S7_ll.has_indirect_call, 0
	.section	.AMDGPU.csdata,"",@progbits
; Kernel info:
; codeLenInByte = 1628
; TotalNumSgprs: 14
; NumVgprs: 24
; ScratchSize: 0
; MemoryBound: 0
; FloatMode: 240
; IeeeMode: 1
; LDSByteSize: 0 bytes/workgroup (compile time only)
; SGPRBlocks: 0
; VGPRBlocks: 1
; NumSGPRsForWavesPerEU: 14
; NumVGPRsForWavesPerEU: 24
; NamedBarCnt: 0
; Occupancy: 16
; WaveLimiterHint : 1
; COMPUTE_PGM_RSRC2:SCRATCH_EN: 0
; COMPUTE_PGM_RSRC2:USER_SGPR: 2
; COMPUTE_PGM_RSRC2:TRAP_HANDLER: 0
; COMPUTE_PGM_RSRC2:TGID_X_EN: 1
; COMPUTE_PGM_RSRC2:TGID_Y_EN: 1
; COMPUTE_PGM_RSRC2:TGID_Z_EN: 1
; COMPUTE_PGM_RSRC2:TIDIG_COMP_CNT: 1
	.section	.text._ZN9rocsolver6v33100L33unit_backward_substitution_kernelI19rocblas_complex_numIdEiPKPS3_EEvT0_S7_T1_S7_S7_llS8_S7_S7_ll,"axG",@progbits,_ZN9rocsolver6v33100L33unit_backward_substitution_kernelI19rocblas_complex_numIdEiPKPS3_EEvT0_S7_T1_S7_S7_llS8_S7_S7_ll,comdat
	.globl	_ZN9rocsolver6v33100L33unit_backward_substitution_kernelI19rocblas_complex_numIdEiPKPS3_EEvT0_S7_T1_S7_S7_llS8_S7_S7_ll ; -- Begin function _ZN9rocsolver6v33100L33unit_backward_substitution_kernelI19rocblas_complex_numIdEiPKPS3_EEvT0_S7_T1_S7_S7_llS8_S7_S7_ll
	.p2align	8
	.type	_ZN9rocsolver6v33100L33unit_backward_substitution_kernelI19rocblas_complex_numIdEiPKPS3_EEvT0_S7_T1_S7_S7_llS8_S7_S7_ll,@function
_ZN9rocsolver6v33100L33unit_backward_substitution_kernelI19rocblas_complex_numIdEiPKPS3_EEvT0_S7_T1_S7_S7_llS8_S7_S7_ll: ; @_ZN9rocsolver6v33100L33unit_backward_substitution_kernelI19rocblas_complex_numIdEiPKPS3_EEvT0_S7_T1_S7_S7_llS8_S7_S7_ll
; %bb.0:
	s_clause 0x1
	s_load_u16 s3, s[0:1], 0x56
	s_load_b64 s[8:9], s[0:1], 0x0
	s_bfe_u32 s2, ttmp6, 0x40010
	s_and_b32 s4, ttmp7, 0xffff
	s_add_co_i32 s2, s2, 1
	s_bfe_u32 s6, ttmp6, 0x40004
	s_mul_i32 s5, s4, s2
	s_getreg_b32 s2, hwreg(HW_REG_IB_STS2, 6, 4)
	v_bfe_u32 v6, v0, 10, 10
	s_add_co_i32 s6, s6, s5
	s_cmp_eq_u32 s2, 0
	s_cselect_b32 s4, s4, s6
	s_wait_kmcnt 0x0
	v_mad_u32 v1, s4, s3, v6
	s_mov_b32 s3, exec_lo
	s_delay_alu instid0(VALU_DEP_1)
	v_cmpx_gt_i32_e64 s9, v1
	s_cbranch_execz .LBB14_9
; %bb.1:
	s_load_b128 s[4:7], s[0:1], 0x28
	s_bfe_u32 s3, ttmp6, 0x40014
	s_lshr_b32 s9, ttmp7, 16
	s_add_co_i32 s3, s3, 1
	s_bfe_u32 s10, ttmp6, 0x40008
	s_mul_i32 s3, s9, s3
	v_and_b32_e32 v10, 0x3ff, v0
	s_add_co_i32 s10, s10, s3
	s_cmp_eq_u32 s2, 0
	s_cselect_b32 s9, s9, s10
	s_load_b64 s[2:3], s[0:1], 0x38
	s_wait_kmcnt 0x0
	s_load_b64 s[10:11], s[4:5], s9 offset:0x0 scale_offset
	v_mul_lo_u32 v0, s6, v10
	s_delay_alu instid0(VALU_DEP_1)
	v_mad_u32 v4, v1, s7, v0
	s_lshl_b64 s[2:3], s[2:3], 4
	s_cmp_lt_i32 s8, 2
	s_wait_kmcnt 0x0
	s_add_nc_u64 s[2:3], s[10:11], s[2:3]
	flat_load_b128 v[0:3], v4, s[2:3] scale_offset
	v_ashrrev_i32_e32 v5, 31, v4
	s_cbranch_scc1 .LBB14_8
; %bb.2:
	s_clause 0x1
	s_load_b128 s[4:7], s[0:1], 0x8
	s_load_b64 s[10:11], s[0:1], 0x18
	v_lshl_add_u32 v12, v6, 4, 0
	s_wait_kmcnt 0x0
	s_load_b64 s[0:1], s[4:5], s9 offset:0x0 scale_offset
	s_wait_xcnt 0x0
	s_add_co_i32 s4, s8, -1
	s_lshl_b64 s[8:9], s[10:11], 4
	s_mul_i32 s5, s7, s4
	s_delay_alu instid0(SALU_CYCLE_1)
	v_mad_u32 v11, s6, v10, s5
	s_wait_kmcnt 0x0
	s_add_nc_u64 s[0:1], s[0:1], s[8:9]
	s_branch .LBB14_4
.LBB14_3:                               ;   in Loop: Header=BB14_4 Depth=1
	s_or_b32 exec_lo, exec_lo, s5
	s_delay_alu instid0(VALU_DEP_2) | instskip(NEXT) | instid1(VALU_DEP_2)
	v_add_f64_e64 v[0:1], v[0:1], -v[8:9]
	v_add_f64_e64 v[2:3], v[2:3], -v[6:7]
	v_subrev_nc_u32_e32 v11, s7, v11
	s_add_co_i32 s5, s4, 1
	s_add_co_i32 s4, s4, -1
	s_cmp_lt_u32 s5, 3
	s_cbranch_scc1 .LBB14_8
.LBB14_4:                               ; =>This Inner Loop Header: Depth=1
	s_mov_b32 s5, exec_lo
	s_wait_loadcnt_dscnt 0x0
	s_barrier_signal -1
	s_barrier_wait -1
	v_cmpx_eq_u32_e64 s4, v10
; %bb.5:                                ;   in Loop: Header=BB14_4 Depth=1
	ds_store_2addr_b64 v12, v[0:1], v[2:3] offset1:1
; %bb.6:                                ;   in Loop: Header=BB14_4 Depth=1
	s_or_b32 exec_lo, exec_lo, s5
	v_mov_b64_e32 v[6:7], 0
	v_mov_b64_e32 v[8:9], 0
	s_mov_b32 s5, exec_lo
	s_wait_dscnt 0x0
	s_barrier_signal -1
	s_barrier_wait -1
	v_cmpx_gt_i32_e64 s4, v10
	s_cbranch_execz .LBB14_3
; %bb.7:                                ;   in Loop: Header=BB14_4 Depth=1
	flat_load_b128 v[14:17], v11, s[0:1] scale_offset
	ds_load_2addr_b64 v[18:21], v12 offset1:1
	s_wait_loadcnt_dscnt 0x0
	v_mul_f64_e32 v[8:9], v[20:21], v[16:17]
	v_mul_f64_e32 v[6:7], v[18:19], v[16:17]
	s_delay_alu instid0(VALU_DEP_2) | instskip(NEXT) | instid1(VALU_DEP_2)
	v_fma_f64 v[8:9], v[18:19], v[14:15], -v[8:9]
	v_fmac_f64_e32 v[6:7], v[20:21], v[14:15]
	s_branch .LBB14_3
.LBB14_8:
	s_wait_xcnt 0x0
	s_delay_alu instid0(VALU_DEP_1)
	v_lshl_add_u64 v[4:5], v[4:5], 4, s[2:3]
	s_wait_loadcnt_dscnt 0x0
	flat_store_b128 v[4:5], v[0:3]
.LBB14_9:
	s_endpgm
	.section	.rodata,"a",@progbits
	.p2align	6, 0x0
	.amdhsa_kernel _ZN9rocsolver6v33100L33unit_backward_substitution_kernelI19rocblas_complex_numIdEiPKPS3_EEvT0_S7_T1_S7_S7_llS8_S7_S7_ll
		.amdhsa_group_segment_fixed_size 0
		.amdhsa_private_segment_fixed_size 0
		.amdhsa_kernarg_size 328
		.amdhsa_user_sgpr_count 2
		.amdhsa_user_sgpr_dispatch_ptr 0
		.amdhsa_user_sgpr_queue_ptr 0
		.amdhsa_user_sgpr_kernarg_segment_ptr 1
		.amdhsa_user_sgpr_dispatch_id 0
		.amdhsa_user_sgpr_kernarg_preload_length 0
		.amdhsa_user_sgpr_kernarg_preload_offset 0
		.amdhsa_user_sgpr_private_segment_size 0
		.amdhsa_wavefront_size32 1
		.amdhsa_uses_dynamic_stack 0
		.amdhsa_enable_private_segment 0
		.amdhsa_system_sgpr_workgroup_id_x 1
		.amdhsa_system_sgpr_workgroup_id_y 1
		.amdhsa_system_sgpr_workgroup_id_z 1
		.amdhsa_system_sgpr_workgroup_info 0
		.amdhsa_system_vgpr_workitem_id 1
		.amdhsa_next_free_vgpr 22
		.amdhsa_next_free_sgpr 12
		.amdhsa_named_barrier_count 0
		.amdhsa_reserve_vcc 0
		.amdhsa_float_round_mode_32 0
		.amdhsa_float_round_mode_16_64 0
		.amdhsa_float_denorm_mode_32 3
		.amdhsa_float_denorm_mode_16_64 3
		.amdhsa_fp16_overflow 0
		.amdhsa_memory_ordered 1
		.amdhsa_forward_progress 1
		.amdhsa_inst_pref_size 5
		.amdhsa_round_robin_scheduling 0
		.amdhsa_exception_fp_ieee_invalid_op 0
		.amdhsa_exception_fp_denorm_src 0
		.amdhsa_exception_fp_ieee_div_zero 0
		.amdhsa_exception_fp_ieee_overflow 0
		.amdhsa_exception_fp_ieee_underflow 0
		.amdhsa_exception_fp_ieee_inexact 0
		.amdhsa_exception_int_div_zero 0
	.end_amdhsa_kernel
	.section	.text._ZN9rocsolver6v33100L33unit_backward_substitution_kernelI19rocblas_complex_numIdEiPKPS3_EEvT0_S7_T1_S7_S7_llS8_S7_S7_ll,"axG",@progbits,_ZN9rocsolver6v33100L33unit_backward_substitution_kernelI19rocblas_complex_numIdEiPKPS3_EEvT0_S7_T1_S7_S7_llS8_S7_S7_ll,comdat
.Lfunc_end14:
	.size	_ZN9rocsolver6v33100L33unit_backward_substitution_kernelI19rocblas_complex_numIdEiPKPS3_EEvT0_S7_T1_S7_S7_llS8_S7_S7_ll, .Lfunc_end14-_ZN9rocsolver6v33100L33unit_backward_substitution_kernelI19rocblas_complex_numIdEiPKPS3_EEvT0_S7_T1_S7_S7_llS8_S7_S7_ll
                                        ; -- End function
	.set _ZN9rocsolver6v33100L33unit_backward_substitution_kernelI19rocblas_complex_numIdEiPKPS3_EEvT0_S7_T1_S7_S7_llS8_S7_S7_ll.num_vgpr, 22
	.set _ZN9rocsolver6v33100L33unit_backward_substitution_kernelI19rocblas_complex_numIdEiPKPS3_EEvT0_S7_T1_S7_S7_llS8_S7_S7_ll.num_agpr, 0
	.set _ZN9rocsolver6v33100L33unit_backward_substitution_kernelI19rocblas_complex_numIdEiPKPS3_EEvT0_S7_T1_S7_S7_llS8_S7_S7_ll.numbered_sgpr, 12
	.set _ZN9rocsolver6v33100L33unit_backward_substitution_kernelI19rocblas_complex_numIdEiPKPS3_EEvT0_S7_T1_S7_S7_llS8_S7_S7_ll.num_named_barrier, 0
	.set _ZN9rocsolver6v33100L33unit_backward_substitution_kernelI19rocblas_complex_numIdEiPKPS3_EEvT0_S7_T1_S7_S7_llS8_S7_S7_ll.private_seg_size, 0
	.set _ZN9rocsolver6v33100L33unit_backward_substitution_kernelI19rocblas_complex_numIdEiPKPS3_EEvT0_S7_T1_S7_S7_llS8_S7_S7_ll.uses_vcc, 0
	.set _ZN9rocsolver6v33100L33unit_backward_substitution_kernelI19rocblas_complex_numIdEiPKPS3_EEvT0_S7_T1_S7_S7_llS8_S7_S7_ll.uses_flat_scratch, 0
	.set _ZN9rocsolver6v33100L33unit_backward_substitution_kernelI19rocblas_complex_numIdEiPKPS3_EEvT0_S7_T1_S7_S7_llS8_S7_S7_ll.has_dyn_sized_stack, 0
	.set _ZN9rocsolver6v33100L33unit_backward_substitution_kernelI19rocblas_complex_numIdEiPKPS3_EEvT0_S7_T1_S7_S7_llS8_S7_S7_ll.has_recursion, 0
	.set _ZN9rocsolver6v33100L33unit_backward_substitution_kernelI19rocblas_complex_numIdEiPKPS3_EEvT0_S7_T1_S7_S7_llS8_S7_S7_ll.has_indirect_call, 0
	.section	.AMDGPU.csdata,"",@progbits
; Kernel info:
; codeLenInByte = 524
; TotalNumSgprs: 12
; NumVgprs: 22
; ScratchSize: 0
; MemoryBound: 0
; FloatMode: 240
; IeeeMode: 1
; LDSByteSize: 0 bytes/workgroup (compile time only)
; SGPRBlocks: 0
; VGPRBlocks: 1
; NumSGPRsForWavesPerEU: 12
; NumVGPRsForWavesPerEU: 22
; NamedBarCnt: 0
; Occupancy: 16
; WaveLimiterHint : 1
; COMPUTE_PGM_RSRC2:SCRATCH_EN: 0
; COMPUTE_PGM_RSRC2:USER_SGPR: 2
; COMPUTE_PGM_RSRC2:TRAP_HANDLER: 0
; COMPUTE_PGM_RSRC2:TGID_X_EN: 1
; COMPUTE_PGM_RSRC2:TGID_Y_EN: 1
; COMPUTE_PGM_RSRC2:TGID_Z_EN: 1
; COMPUTE_PGM_RSRC2:TIDIG_COMP_CNT: 1
	.section	.text._ZN9rocsolver6v33100L36nonunit_backward_substitution_kernelI19rocblas_complex_numIdEiPKPS3_EEvT0_S7_T1_S7_S7_llS8_S7_S7_ll,"axG",@progbits,_ZN9rocsolver6v33100L36nonunit_backward_substitution_kernelI19rocblas_complex_numIdEiPKPS3_EEvT0_S7_T1_S7_S7_llS8_S7_S7_ll,comdat
	.globl	_ZN9rocsolver6v33100L36nonunit_backward_substitution_kernelI19rocblas_complex_numIdEiPKPS3_EEvT0_S7_T1_S7_S7_llS8_S7_S7_ll ; -- Begin function _ZN9rocsolver6v33100L36nonunit_backward_substitution_kernelI19rocblas_complex_numIdEiPKPS3_EEvT0_S7_T1_S7_S7_llS8_S7_S7_ll
	.p2align	8
	.type	_ZN9rocsolver6v33100L36nonunit_backward_substitution_kernelI19rocblas_complex_numIdEiPKPS3_EEvT0_S7_T1_S7_S7_llS8_S7_S7_ll,@function
_ZN9rocsolver6v33100L36nonunit_backward_substitution_kernelI19rocblas_complex_numIdEiPKPS3_EEvT0_S7_T1_S7_S7_llS8_S7_S7_ll: ; @_ZN9rocsolver6v33100L36nonunit_backward_substitution_kernelI19rocblas_complex_numIdEiPKPS3_EEvT0_S7_T1_S7_S7_llS8_S7_S7_ll
; %bb.0:
	s_clause 0x1
	s_load_u16 s3, s[0:1], 0x56
	s_load_b64 s[6:7], s[0:1], 0x0
	s_bfe_u32 s2, ttmp6, 0x40010
	s_and_b32 s4, ttmp7, 0xffff
	s_add_co_i32 s2, s2, 1
	s_bfe_u32 s8, ttmp6, 0x40004
	s_mul_i32 s5, s4, s2
	s_getreg_b32 s2, hwreg(HW_REG_IB_STS2, 6, 4)
	v_bfe_u32 v4, v0, 10, 10
	s_add_co_i32 s8, s8, s5
	s_cmp_eq_u32 s2, 0
	s_cselect_b32 s4, s4, s8
	s_wait_kmcnt 0x0
	v_mad_u32 v1, s4, s3, v4
	s_mov_b32 s3, exec_lo
	s_delay_alu instid0(VALU_DEP_1)
	v_cmpx_gt_i32_e64 s7, v1
	s_cbranch_execz .LBB15_19
; %bb.1:
	s_load_b128 s[8:11], s[0:1], 0x28
	s_bfe_u32 s3, ttmp6, 0x40014
	s_lshr_b32 s4, ttmp7, 16
	s_add_co_i32 s3, s3, 1
	s_bfe_u32 s5, ttmp6, 0x40008
	s_mul_i32 s3, s4, s3
	v_and_b32_e32 v12, 0x3ff, v0
	s_add_co_i32 s5, s5, s3
	s_cmp_eq_u32 s2, 0
	s_cselect_b32 s7, s4, s5
	s_load_b64 s[2:3], s[0:1], 0x38
	s_wait_kmcnt 0x0
	s_load_b64 s[4:5], s[8:9], s7 offset:0x0 scale_offset
	v_mul_lo_u32 v0, s10, v12
	s_delay_alu instid0(VALU_DEP_1)
	v_mad_u32 v8, v1, s11, v0
	s_lshl_b64 s[2:3], s[2:3], 4
	s_wait_kmcnt 0x0
	s_add_nc_u64 s[2:3], s[4:5], s[2:3]
	flat_load_b128 v[0:3], v8, s[2:3] scale_offset
	s_clause 0x1
	s_load_b64 s[4:5], s[0:1], 0x8
	s_load_b64 s[8:9], s[0:1], 0x18
	v_ashrrev_i32_e32 v9, 31, v8
	s_wait_kmcnt 0x0
	s_load_b64 s[4:5], s[4:5], s7 offset:0x0 scale_offset
	s_lshl_b64 s[8:9], s[8:9], 4
	s_cmp_lt_i32 s6, 2
	s_wait_kmcnt 0x0
	s_add_nc_u64 s[4:5], s[4:5], s[8:9]
	s_cbranch_scc1 .LBB15_12
; %bb.2:
	s_load_b64 s[0:1], s[0:1], 0x10
	s_add_co_i32 s6, s6, -1
	v_lshl_add_u32 v14, v4, 4, 0
	s_wait_kmcnt 0x0
	s_add_co_i32 s7, s1, s0
	s_delay_alu instid0(SALU_CYCLE_1) | instskip(SKIP_1) | instid1(SALU_CYCLE_1)
	v_mul_lo_u32 v6, s7, v12
	s_mul_i32 s7, s1, s6
	v_mad_u32 v13, s0, v12, s7
	s_delay_alu instid0(VALU_DEP_2) | instskip(NEXT) | instid1(VALU_DEP_1)
	v_ashrrev_i32_e32 v7, 31, v6
	v_lshl_add_u64 v[10:11], v[6:7], 4, s[4:5]
	s_branch .LBB15_4
.LBB15_3:                               ;   in Loop: Header=BB15_4 Depth=1
	s_or_b32 exec_lo, exec_lo, s0
	s_delay_alu instid0(VALU_DEP_2) | instskip(NEXT) | instid1(VALU_DEP_2)
	v_add_f64_e64 v[0:1], v[0:1], -v[6:7]
	v_add_f64_e64 v[2:3], v[2:3], -v[4:5]
	v_subrev_nc_u32_e32 v13, s1, v13
	s_add_co_i32 s0, s6, 1
	s_add_co_i32 s6, s6, -1
	s_cmp_lt_u32 s0, 3
	s_cbranch_scc1 .LBB15_12
.LBB15_4:                               ; =>This Inner Loop Header: Depth=1
	s_mov_b32 s0, exec_lo
	s_wait_loadcnt_dscnt 0x0
	s_barrier_signal -1
	s_barrier_wait -1
	v_cmpx_eq_u32_e64 s6, v12
	s_cbranch_execz .LBB15_10
; %bb.5:                                ;   in Loop: Header=BB15_4 Depth=1
	flat_load_b128 v[4:7], v[10:11]
	s_wait_loadcnt_dscnt 0x0
	v_cmp_ngt_f64_e64 s7, |v[4:5]|, |v[6:7]|
	s_and_saveexec_b32 s8, s7
	s_delay_alu instid0(SALU_CYCLE_1)
	s_xor_b32 s7, exec_lo, s8
	s_cbranch_execz .LBB15_7
; %bb.6:                                ;   in Loop: Header=BB15_4 Depth=1
	v_div_scale_f64 v[16:17], null, v[6:7], v[6:7], v[4:5]
	v_div_scale_f64 v[22:23], vcc_lo, v[4:5], v[6:7], v[4:5]
	s_delay_alu instid0(VALU_DEP_2) | instskip(SKIP_1) | instid1(TRANS32_DEP_1)
	v_rcp_f64_e32 v[18:19], v[16:17]
	v_nop
	v_fma_f64 v[20:21], -v[16:17], v[18:19], 1.0
	s_delay_alu instid0(VALU_DEP_1) | instskip(NEXT) | instid1(VALU_DEP_1)
	v_fmac_f64_e32 v[18:19], v[18:19], v[20:21]
	v_fma_f64 v[20:21], -v[16:17], v[18:19], 1.0
	s_delay_alu instid0(VALU_DEP_1) | instskip(NEXT) | instid1(VALU_DEP_1)
	v_fmac_f64_e32 v[18:19], v[18:19], v[20:21]
	v_mul_f64_e32 v[20:21], v[22:23], v[18:19]
	s_delay_alu instid0(VALU_DEP_1) | instskip(NEXT) | instid1(VALU_DEP_1)
	v_fma_f64 v[16:17], -v[16:17], v[20:21], v[22:23]
	v_div_fmas_f64 v[16:17], v[16:17], v[18:19], v[20:21]
	s_delay_alu instid0(VALU_DEP_1) | instskip(NEXT) | instid1(VALU_DEP_1)
	v_div_fixup_f64 v[16:17], v[16:17], v[6:7], v[4:5]
	v_fmac_f64_e32 v[6:7], v[4:5], v[16:17]
	s_delay_alu instid0(VALU_DEP_1) | instskip(SKIP_1) | instid1(VALU_DEP_2)
	v_div_scale_f64 v[4:5], null, v[6:7], v[6:7], 1.0
	v_div_scale_f64 v[22:23], vcc_lo, 1.0, v[6:7], 1.0
	v_rcp_f64_e32 v[18:19], v[4:5]
	v_nop
	s_delay_alu instid0(TRANS32_DEP_1) | instskip(NEXT) | instid1(VALU_DEP_1)
	v_fma_f64 v[20:21], -v[4:5], v[18:19], 1.0
	v_fmac_f64_e32 v[18:19], v[18:19], v[20:21]
	s_delay_alu instid0(VALU_DEP_1) | instskip(NEXT) | instid1(VALU_DEP_1)
	v_fma_f64 v[20:21], -v[4:5], v[18:19], 1.0
	v_fmac_f64_e32 v[18:19], v[18:19], v[20:21]
	s_delay_alu instid0(VALU_DEP_1) | instskip(NEXT) | instid1(VALU_DEP_1)
	v_mul_f64_e32 v[20:21], v[22:23], v[18:19]
	v_fma_f64 v[4:5], -v[4:5], v[20:21], v[22:23]
	s_delay_alu instid0(VALU_DEP_1) | instskip(NEXT) | instid1(VALU_DEP_1)
	v_div_fmas_f64 v[4:5], v[4:5], v[18:19], v[20:21]
	v_div_fixup_f64 v[4:5], v[4:5], v[6:7], 1.0
	v_fma_f64 v[6:7], v[0:1], v[16:17], v[2:3]
	v_fma_f64 v[0:1], v[2:3], v[16:17], -v[0:1]
	s_delay_alu instid0(VALU_DEP_2) | instskip(NEXT) | instid1(VALU_DEP_2)
	v_mul_f64_e32 v[6:7], v[6:7], v[4:5]
	v_mul_f64_e32 v[2:3], v[0:1], v[4:5]
	s_delay_alu instid0(VALU_DEP_2)
	v_mov_b64_e32 v[0:1], v[6:7]
                                        ; implicit-def: $vgpr4_vgpr5
.LBB15_7:                               ;   in Loop: Header=BB15_4 Depth=1
	s_and_not1_saveexec_b32 s7, s7
	s_cbranch_execz .LBB15_9
; %bb.8:                                ;   in Loop: Header=BB15_4 Depth=1
	v_div_scale_f64 v[16:17], null, v[4:5], v[4:5], v[6:7]
	v_div_scale_f64 v[22:23], vcc_lo, v[6:7], v[4:5], v[6:7]
	s_delay_alu instid0(VALU_DEP_2) | instskip(SKIP_1) | instid1(TRANS32_DEP_1)
	v_rcp_f64_e32 v[18:19], v[16:17]
	v_nop
	v_fma_f64 v[20:21], -v[16:17], v[18:19], 1.0
	s_delay_alu instid0(VALU_DEP_1) | instskip(NEXT) | instid1(VALU_DEP_1)
	v_fmac_f64_e32 v[18:19], v[18:19], v[20:21]
	v_fma_f64 v[20:21], -v[16:17], v[18:19], 1.0
	s_delay_alu instid0(VALU_DEP_1) | instskip(NEXT) | instid1(VALU_DEP_1)
	v_fmac_f64_e32 v[18:19], v[18:19], v[20:21]
	v_mul_f64_e32 v[20:21], v[22:23], v[18:19]
	s_delay_alu instid0(VALU_DEP_1) | instskip(NEXT) | instid1(VALU_DEP_1)
	v_fma_f64 v[16:17], -v[16:17], v[20:21], v[22:23]
	v_div_fmas_f64 v[16:17], v[16:17], v[18:19], v[20:21]
	s_delay_alu instid0(VALU_DEP_1) | instskip(NEXT) | instid1(VALU_DEP_1)
	v_div_fixup_f64 v[16:17], v[16:17], v[4:5], v[6:7]
	v_fmac_f64_e32 v[4:5], v[6:7], v[16:17]
	s_delay_alu instid0(VALU_DEP_1) | instskip(SKIP_1) | instid1(VALU_DEP_2)
	v_div_scale_f64 v[6:7], null, v[4:5], v[4:5], 1.0
	v_div_scale_f64 v[22:23], vcc_lo, 1.0, v[4:5], 1.0
	v_rcp_f64_e32 v[18:19], v[6:7]
	v_nop
	s_delay_alu instid0(TRANS32_DEP_1) | instskip(NEXT) | instid1(VALU_DEP_1)
	v_fma_f64 v[20:21], -v[6:7], v[18:19], 1.0
	v_fmac_f64_e32 v[18:19], v[18:19], v[20:21]
	s_delay_alu instid0(VALU_DEP_1) | instskip(NEXT) | instid1(VALU_DEP_1)
	v_fma_f64 v[20:21], -v[6:7], v[18:19], 1.0
	v_fmac_f64_e32 v[18:19], v[18:19], v[20:21]
	s_delay_alu instid0(VALU_DEP_1) | instskip(NEXT) | instid1(VALU_DEP_1)
	v_mul_f64_e32 v[20:21], v[22:23], v[18:19]
	v_fma_f64 v[6:7], -v[6:7], v[20:21], v[22:23]
	s_delay_alu instid0(VALU_DEP_1) | instskip(NEXT) | instid1(VALU_DEP_1)
	v_div_fmas_f64 v[6:7], v[6:7], v[18:19], v[20:21]
	v_div_fixup_f64 v[4:5], v[6:7], v[4:5], 1.0
	v_fma_f64 v[6:7], v[2:3], v[16:17], v[0:1]
	v_fma_f64 v[0:1], -v[0:1], v[16:17], v[2:3]
	s_delay_alu instid0(VALU_DEP_2) | instskip(NEXT) | instid1(VALU_DEP_2)
	v_mul_f64_e32 v[6:7], v[6:7], v[4:5]
	v_mul_f64_e32 v[2:3], v[0:1], v[4:5]
	s_delay_alu instid0(VALU_DEP_2)
	v_mov_b64_e32 v[0:1], v[6:7]
.LBB15_9:                               ;   in Loop: Header=BB15_4 Depth=1
	s_or_b32 exec_lo, exec_lo, s7
	ds_store_2addr_b64 v14, v[0:1], v[2:3] offset1:1
.LBB15_10:                              ;   in Loop: Header=BB15_4 Depth=1
	s_or_b32 exec_lo, exec_lo, s0
	v_mov_b64_e32 v[4:5], 0
	v_mov_b64_e32 v[6:7], 0
	s_mov_b32 s0, exec_lo
	s_wait_dscnt 0x0
	s_barrier_signal -1
	s_barrier_wait -1
	v_cmpx_gt_i32_e64 s6, v12
	s_cbranch_execz .LBB15_3
; %bb.11:                               ;   in Loop: Header=BB15_4 Depth=1
	flat_load_b128 v[16:19], v13, s[4:5] scale_offset
	ds_load_2addr_b64 v[20:23], v14 offset1:1
	s_wait_loadcnt_dscnt 0x0
	v_mul_f64_e32 v[6:7], v[22:23], v[18:19]
	v_mul_f64_e32 v[4:5], v[20:21], v[18:19]
	s_delay_alu instid0(VALU_DEP_2) | instskip(NEXT) | instid1(VALU_DEP_2)
	v_fma_f64 v[6:7], v[20:21], v[16:17], -v[6:7]
	v_fmac_f64_e32 v[4:5], v[22:23], v[16:17]
	s_branch .LBB15_3
.LBB15_12:
	v_lshl_add_u64 v[8:9], v[8:9], 4, s[2:3]
	s_mov_b32 s0, exec_lo
	v_cmpx_eq_u32_e32 0, v12
	s_cbranch_execz .LBB15_18
; %bb.13:
	v_mov_b32_e32 v4, 0
	flat_load_b128 v[4:7], v4, s[4:5]
	s_wait_loadcnt_dscnt 0x0
	v_cmp_ngt_f64_e64 s1, |v[4:5]|, |v[6:7]|
	s_and_saveexec_b32 s2, s1
	s_delay_alu instid0(SALU_CYCLE_1)
	s_xor_b32 s1, exec_lo, s2
	s_cbranch_execz .LBB15_15
; %bb.14:
	v_div_scale_f64 v[10:11], null, v[6:7], v[6:7], v[4:5]
	v_div_scale_f64 v[16:17], vcc_lo, v[4:5], v[6:7], v[4:5]
	s_delay_alu instid0(VALU_DEP_2) | instskip(SKIP_1) | instid1(TRANS32_DEP_1)
	v_rcp_f64_e32 v[12:13], v[10:11]
	v_nop
	v_fma_f64 v[14:15], -v[10:11], v[12:13], 1.0
	s_delay_alu instid0(VALU_DEP_1) | instskip(NEXT) | instid1(VALU_DEP_1)
	v_fmac_f64_e32 v[12:13], v[12:13], v[14:15]
	v_fma_f64 v[14:15], -v[10:11], v[12:13], 1.0
	s_delay_alu instid0(VALU_DEP_1) | instskip(NEXT) | instid1(VALU_DEP_1)
	v_fmac_f64_e32 v[12:13], v[12:13], v[14:15]
	v_mul_f64_e32 v[14:15], v[16:17], v[12:13]
	s_delay_alu instid0(VALU_DEP_1) | instskip(NEXT) | instid1(VALU_DEP_1)
	v_fma_f64 v[10:11], -v[10:11], v[14:15], v[16:17]
	v_div_fmas_f64 v[10:11], v[10:11], v[12:13], v[14:15]
	s_delay_alu instid0(VALU_DEP_1) | instskip(NEXT) | instid1(VALU_DEP_1)
	v_div_fixup_f64 v[10:11], v[10:11], v[6:7], v[4:5]
	v_fmac_f64_e32 v[6:7], v[4:5], v[10:11]
	s_delay_alu instid0(VALU_DEP_1) | instskip(SKIP_1) | instid1(VALU_DEP_2)
	v_div_scale_f64 v[4:5], null, v[6:7], v[6:7], 1.0
	v_div_scale_f64 v[16:17], vcc_lo, 1.0, v[6:7], 1.0
	v_rcp_f64_e32 v[12:13], v[4:5]
	v_nop
	s_delay_alu instid0(TRANS32_DEP_1) | instskip(NEXT) | instid1(VALU_DEP_1)
	v_fma_f64 v[14:15], -v[4:5], v[12:13], 1.0
	v_fmac_f64_e32 v[12:13], v[12:13], v[14:15]
	s_delay_alu instid0(VALU_DEP_1) | instskip(NEXT) | instid1(VALU_DEP_1)
	v_fma_f64 v[14:15], -v[4:5], v[12:13], 1.0
	v_fmac_f64_e32 v[12:13], v[12:13], v[14:15]
	s_delay_alu instid0(VALU_DEP_1) | instskip(NEXT) | instid1(VALU_DEP_1)
	v_mul_f64_e32 v[14:15], v[16:17], v[12:13]
	v_fma_f64 v[4:5], -v[4:5], v[14:15], v[16:17]
	s_delay_alu instid0(VALU_DEP_1) | instskip(NEXT) | instid1(VALU_DEP_1)
	v_div_fmas_f64 v[4:5], v[4:5], v[12:13], v[14:15]
	v_div_fixup_f64 v[4:5], v[4:5], v[6:7], 1.0
	v_fma_f64 v[6:7], v[0:1], v[10:11], v[2:3]
	v_fma_f64 v[0:1], v[2:3], v[10:11], -v[0:1]
	s_delay_alu instid0(VALU_DEP_2) | instskip(NEXT) | instid1(VALU_DEP_2)
	v_mul_f64_e32 v[6:7], v[6:7], v[4:5]
	v_mul_f64_e32 v[2:3], v[0:1], v[4:5]
	s_delay_alu instid0(VALU_DEP_2)
	v_mov_b64_e32 v[0:1], v[6:7]
                                        ; implicit-def: $vgpr4_vgpr5
.LBB15_15:
	s_and_not1_saveexec_b32 s1, s1
	s_cbranch_execz .LBB15_17
; %bb.16:
	v_div_scale_f64 v[10:11], null, v[4:5], v[4:5], v[6:7]
	v_div_scale_f64 v[16:17], vcc_lo, v[6:7], v[4:5], v[6:7]
	s_delay_alu instid0(VALU_DEP_2) | instskip(SKIP_1) | instid1(TRANS32_DEP_1)
	v_rcp_f64_e32 v[12:13], v[10:11]
	v_nop
	v_fma_f64 v[14:15], -v[10:11], v[12:13], 1.0
	s_delay_alu instid0(VALU_DEP_1) | instskip(NEXT) | instid1(VALU_DEP_1)
	v_fmac_f64_e32 v[12:13], v[12:13], v[14:15]
	v_fma_f64 v[14:15], -v[10:11], v[12:13], 1.0
	s_delay_alu instid0(VALU_DEP_1) | instskip(NEXT) | instid1(VALU_DEP_1)
	v_fmac_f64_e32 v[12:13], v[12:13], v[14:15]
	v_mul_f64_e32 v[14:15], v[16:17], v[12:13]
	s_delay_alu instid0(VALU_DEP_1) | instskip(NEXT) | instid1(VALU_DEP_1)
	v_fma_f64 v[10:11], -v[10:11], v[14:15], v[16:17]
	v_div_fmas_f64 v[10:11], v[10:11], v[12:13], v[14:15]
	s_delay_alu instid0(VALU_DEP_1) | instskip(NEXT) | instid1(VALU_DEP_1)
	v_div_fixup_f64 v[10:11], v[10:11], v[4:5], v[6:7]
	v_fmac_f64_e32 v[4:5], v[6:7], v[10:11]
	s_delay_alu instid0(VALU_DEP_1) | instskip(SKIP_1) | instid1(VALU_DEP_2)
	v_div_scale_f64 v[6:7], null, v[4:5], v[4:5], 1.0
	v_div_scale_f64 v[16:17], vcc_lo, 1.0, v[4:5], 1.0
	v_rcp_f64_e32 v[12:13], v[6:7]
	v_nop
	s_delay_alu instid0(TRANS32_DEP_1) | instskip(NEXT) | instid1(VALU_DEP_1)
	v_fma_f64 v[14:15], -v[6:7], v[12:13], 1.0
	v_fmac_f64_e32 v[12:13], v[12:13], v[14:15]
	s_delay_alu instid0(VALU_DEP_1) | instskip(NEXT) | instid1(VALU_DEP_1)
	v_fma_f64 v[14:15], -v[6:7], v[12:13], 1.0
	v_fmac_f64_e32 v[12:13], v[12:13], v[14:15]
	s_delay_alu instid0(VALU_DEP_1) | instskip(NEXT) | instid1(VALU_DEP_1)
	v_mul_f64_e32 v[14:15], v[16:17], v[12:13]
	v_fma_f64 v[6:7], -v[6:7], v[14:15], v[16:17]
	s_delay_alu instid0(VALU_DEP_1) | instskip(NEXT) | instid1(VALU_DEP_1)
	v_div_fmas_f64 v[6:7], v[6:7], v[12:13], v[14:15]
	v_div_fixup_f64 v[4:5], v[6:7], v[4:5], 1.0
	v_fma_f64 v[6:7], v[2:3], v[10:11], v[0:1]
	v_fma_f64 v[0:1], -v[0:1], v[10:11], v[2:3]
	s_delay_alu instid0(VALU_DEP_2) | instskip(NEXT) | instid1(VALU_DEP_2)
	v_mul_f64_e32 v[6:7], v[6:7], v[4:5]
	v_mul_f64_e32 v[2:3], v[0:1], v[4:5]
	s_delay_alu instid0(VALU_DEP_2)
	v_mov_b64_e32 v[0:1], v[6:7]
.LBB15_17:
	s_or_b32 exec_lo, exec_lo, s1
.LBB15_18:
	s_delay_alu instid0(SALU_CYCLE_1)
	s_or_b32 exec_lo, exec_lo, s0
	s_wait_loadcnt_dscnt 0x0
	flat_store_b128 v[8:9], v[0:3]
.LBB15_19:
	s_endpgm
	.section	.rodata,"a",@progbits
	.p2align	6, 0x0
	.amdhsa_kernel _ZN9rocsolver6v33100L36nonunit_backward_substitution_kernelI19rocblas_complex_numIdEiPKPS3_EEvT0_S7_T1_S7_S7_llS8_S7_S7_ll
		.amdhsa_group_segment_fixed_size 0
		.amdhsa_private_segment_fixed_size 0
		.amdhsa_kernarg_size 328
		.amdhsa_user_sgpr_count 2
		.amdhsa_user_sgpr_dispatch_ptr 0
		.amdhsa_user_sgpr_queue_ptr 0
		.amdhsa_user_sgpr_kernarg_segment_ptr 1
		.amdhsa_user_sgpr_dispatch_id 0
		.amdhsa_user_sgpr_kernarg_preload_length 0
		.amdhsa_user_sgpr_kernarg_preload_offset 0
		.amdhsa_user_sgpr_private_segment_size 0
		.amdhsa_wavefront_size32 1
		.amdhsa_uses_dynamic_stack 0
		.amdhsa_enable_private_segment 0
		.amdhsa_system_sgpr_workgroup_id_x 1
		.amdhsa_system_sgpr_workgroup_id_y 1
		.amdhsa_system_sgpr_workgroup_id_z 1
		.amdhsa_system_sgpr_workgroup_info 0
		.amdhsa_system_vgpr_workitem_id 1
		.amdhsa_next_free_vgpr 24
		.amdhsa_next_free_sgpr 12
		.amdhsa_named_barrier_count 0
		.amdhsa_reserve_vcc 1
		.amdhsa_float_round_mode_32 0
		.amdhsa_float_round_mode_16_64 0
		.amdhsa_float_denorm_mode_32 3
		.amdhsa_float_denorm_mode_16_64 3
		.amdhsa_fp16_overflow 0
		.amdhsa_memory_ordered 1
		.amdhsa_forward_progress 1
		.amdhsa_inst_pref_size 13
		.amdhsa_round_robin_scheduling 0
		.amdhsa_exception_fp_ieee_invalid_op 0
		.amdhsa_exception_fp_denorm_src 0
		.amdhsa_exception_fp_ieee_div_zero 0
		.amdhsa_exception_fp_ieee_overflow 0
		.amdhsa_exception_fp_ieee_underflow 0
		.amdhsa_exception_fp_ieee_inexact 0
		.amdhsa_exception_int_div_zero 0
	.end_amdhsa_kernel
	.section	.text._ZN9rocsolver6v33100L36nonunit_backward_substitution_kernelI19rocblas_complex_numIdEiPKPS3_EEvT0_S7_T1_S7_S7_llS8_S7_S7_ll,"axG",@progbits,_ZN9rocsolver6v33100L36nonunit_backward_substitution_kernelI19rocblas_complex_numIdEiPKPS3_EEvT0_S7_T1_S7_S7_llS8_S7_S7_ll,comdat
.Lfunc_end15:
	.size	_ZN9rocsolver6v33100L36nonunit_backward_substitution_kernelI19rocblas_complex_numIdEiPKPS3_EEvT0_S7_T1_S7_S7_llS8_S7_S7_ll, .Lfunc_end15-_ZN9rocsolver6v33100L36nonunit_backward_substitution_kernelI19rocblas_complex_numIdEiPKPS3_EEvT0_S7_T1_S7_S7_llS8_S7_S7_ll
                                        ; -- End function
	.set _ZN9rocsolver6v33100L36nonunit_backward_substitution_kernelI19rocblas_complex_numIdEiPKPS3_EEvT0_S7_T1_S7_S7_llS8_S7_S7_ll.num_vgpr, 24
	.set _ZN9rocsolver6v33100L36nonunit_backward_substitution_kernelI19rocblas_complex_numIdEiPKPS3_EEvT0_S7_T1_S7_S7_llS8_S7_S7_ll.num_agpr, 0
	.set _ZN9rocsolver6v33100L36nonunit_backward_substitution_kernelI19rocblas_complex_numIdEiPKPS3_EEvT0_S7_T1_S7_S7_llS8_S7_S7_ll.numbered_sgpr, 12
	.set _ZN9rocsolver6v33100L36nonunit_backward_substitution_kernelI19rocblas_complex_numIdEiPKPS3_EEvT0_S7_T1_S7_S7_llS8_S7_S7_ll.num_named_barrier, 0
	.set _ZN9rocsolver6v33100L36nonunit_backward_substitution_kernelI19rocblas_complex_numIdEiPKPS3_EEvT0_S7_T1_S7_S7_llS8_S7_S7_ll.private_seg_size, 0
	.set _ZN9rocsolver6v33100L36nonunit_backward_substitution_kernelI19rocblas_complex_numIdEiPKPS3_EEvT0_S7_T1_S7_S7_llS8_S7_S7_ll.uses_vcc, 1
	.set _ZN9rocsolver6v33100L36nonunit_backward_substitution_kernelI19rocblas_complex_numIdEiPKPS3_EEvT0_S7_T1_S7_S7_llS8_S7_S7_ll.uses_flat_scratch, 0
	.set _ZN9rocsolver6v33100L36nonunit_backward_substitution_kernelI19rocblas_complex_numIdEiPKPS3_EEvT0_S7_T1_S7_S7_llS8_S7_S7_ll.has_dyn_sized_stack, 0
	.set _ZN9rocsolver6v33100L36nonunit_backward_substitution_kernelI19rocblas_complex_numIdEiPKPS3_EEvT0_S7_T1_S7_S7_llS8_S7_S7_ll.has_recursion, 0
	.set _ZN9rocsolver6v33100L36nonunit_backward_substitution_kernelI19rocblas_complex_numIdEiPKPS3_EEvT0_S7_T1_S7_S7_llS8_S7_S7_ll.has_indirect_call, 0
	.section	.AMDGPU.csdata,"",@progbits
; Kernel info:
; codeLenInByte = 1612
; TotalNumSgprs: 14
; NumVgprs: 24
; ScratchSize: 0
; MemoryBound: 0
; FloatMode: 240
; IeeeMode: 1
; LDSByteSize: 0 bytes/workgroup (compile time only)
; SGPRBlocks: 0
; VGPRBlocks: 1
; NumSGPRsForWavesPerEU: 14
; NumVGPRsForWavesPerEU: 24
; NamedBarCnt: 0
; Occupancy: 16
; WaveLimiterHint : 1
; COMPUTE_PGM_RSRC2:SCRATCH_EN: 0
; COMPUTE_PGM_RSRC2:USER_SGPR: 2
; COMPUTE_PGM_RSRC2:TRAP_HANDLER: 0
; COMPUTE_PGM_RSRC2:TGID_X_EN: 1
; COMPUTE_PGM_RSRC2:TGID_Y_EN: 1
; COMPUTE_PGM_RSRC2:TGID_Z_EN: 1
; COMPUTE_PGM_RSRC2:TIDIG_COMP_CNT: 1
	.section	.text._ZN9rocsolver6v33100L37conj_unit_forward_substitution_kernelI19rocblas_complex_numIdElPS3_EEvT0_S5_T1_S5_S5_llS6_S5_S5_ll,"axG",@progbits,_ZN9rocsolver6v33100L37conj_unit_forward_substitution_kernelI19rocblas_complex_numIdElPS3_EEvT0_S5_T1_S5_S5_llS6_S5_S5_ll,comdat
	.globl	_ZN9rocsolver6v33100L37conj_unit_forward_substitution_kernelI19rocblas_complex_numIdElPS3_EEvT0_S5_T1_S5_S5_llS6_S5_S5_ll ; -- Begin function _ZN9rocsolver6v33100L37conj_unit_forward_substitution_kernelI19rocblas_complex_numIdElPS3_EEvT0_S5_T1_S5_S5_llS6_S5_S5_ll
	.p2align	8
	.type	_ZN9rocsolver6v33100L37conj_unit_forward_substitution_kernelI19rocblas_complex_numIdElPS3_EEvT0_S5_T1_S5_S5_llS6_S5_S5_ll,@function
_ZN9rocsolver6v33100L37conj_unit_forward_substitution_kernelI19rocblas_complex_numIdElPS3_EEvT0_S5_T1_S5_S5_llS6_S5_S5_ll: ; @_ZN9rocsolver6v33100L37conj_unit_forward_substitution_kernelI19rocblas_complex_numIdElPS3_EEvT0_S5_T1_S5_S5_llS6_S5_S5_ll
; %bb.0:
	s_clause 0x1
	s_load_u16 s3, s[0:1], 0x6e
	s_load_b512 s[4:19], s[0:1], 0x0
	s_bfe_u32 s2, ttmp6, 0x40010
	v_mov_b32_e32 v5, 0
	s_and_b32 s20, ttmp7, 0xffff
	s_add_co_i32 s2, s2, 1
	s_bfe_u32 s22, ttmp6, 0x40004
	s_mul_i32 s21, s20, s2
	s_getreg_b32 s2, hwreg(HW_REG_IB_STS2, 6, 4)
	v_bfe_u32 v8, v0, 10, 10
	v_mov_b32_e32 v9, v5
	s_add_co_i32 s22, s22, s21
	s_cmp_eq_u32 s2, 0
	s_cselect_b32 s20, s20, s22
	s_wait_kmcnt 0x0
	v_mad_nc_u64_u32 v[2:3], s3, s20, v[8:9]
	s_mov_b32 s3, 0
	s_delay_alu instid0(VALU_DEP_1)
	v_cmp_gt_i64_e32 vcc_lo, s[6:7], v[2:3]
	s_and_saveexec_b32 s6, vcc_lo
	s_cbranch_execz .LBB16_9
; %bb.1:
	s_load_b256 s[20:27], s[0:1], 0x40
	v_and_b32_e32 v4, 0x3ff, v0
	s_wait_xcnt 0x0
	s_bfe_u32 s0, ttmp6, 0x40014
	s_lshr_b32 s1, ttmp7, 16
	s_add_co_i32 s0, s0, 1
	s_bfe_u32 s6, ttmp6, 0x40008
	s_mul_i32 s0, s1, s0
	s_delay_alu instid0(SALU_CYCLE_1)
	s_add_co_i32 s6, s6, s0
	s_cmp_eq_u32 s2, 0
	s_cselect_b32 s2, s1, s6
	s_wait_kmcnt 0x0
	v_mul_u64_e32 v[0:1], s[20:21], v[4:5]
	v_mul_u64_e32 v[2:3], s[22:23], v[2:3]
	s_mul_u64 s[0:1], s[26:27], s[2:3]
	s_lshl_b64 s[6:7], s[24:25], 4
	s_lshl_b64 s[0:1], s[0:1], 4
	s_delay_alu instid0(SALU_CYCLE_1) | instskip(NEXT) | instid1(SALU_CYCLE_1)
	s_add_nc_u64 s[0:1], s[18:19], s[0:1]
	s_add_nc_u64 s[0:1], s[0:1], s[6:7]
	s_delay_alu instid0(VALU_DEP_2) | instid1(SALU_CYCLE_1)
	v_lshl_add_u64 v[0:1], v[0:1], 4, s[0:1]
	v_cmp_lt_i64_e64 s0, s[4:5], 2
	s_delay_alu instid0(VALU_DEP_2)
	v_lshl_add_u64 v[6:7], v[2:3], 4, v[0:1]
	s_and_b32 vcc_lo, exec_lo, s0
	global_load_b128 v[0:3], v[6:7], off
	s_cbranch_vccnz .LBB16_8
; %bb.2:
	v_mul_u64_e32 v[10:11], s[10:11], v[4:5]
	s_mul_u64 s[0:1], s[16:17], s[2:3]
	s_lshl_b64 s[2:3], s[14:15], 4
	s_lshl_b64 s[0:1], s[0:1], 4
	s_add_nc_u64 s[2:3], s[8:9], s[2:3]
	v_lshl_add_u32 v14, v8, 4, 0
	s_add_nc_u64 s[0:1], s[2:3], s[0:1]
	s_lshl_b64 s[2:3], s[12:13], 4
	s_delay_alu instid0(VALU_DEP_2) | instskip(SKIP_2) | instid1(VALU_DEP_1)
	v_lshl_add_u64 v[10:11], v[10:11], 4, s[0:1]
	s_add_nc_u64 s[0:1], s[4:5], -1
	s_mov_b64 s[4:5], 0
	v_add_nc_u64_e32 v[10:11], 8, v[10:11]
	s_branch .LBB16_4
.LBB16_3:                               ;   in Loop: Header=BB16_4 Depth=1
	s_or_b32 exec_lo, exec_lo, s6
	s_delay_alu instid0(VALU_DEP_2) | instskip(NEXT) | instid1(VALU_DEP_2)
	v_add_f64_e64 v[0:1], v[0:1], -v[8:9]
	v_add_f64_e64 v[2:3], v[2:3], -v[12:13]
	v_add_nc_u64_e32 v[10:11], s[2:3], v[10:11]
	s_add_nc_u64 s[4:5], s[4:5], 1
	s_delay_alu instid0(SALU_CYCLE_1)
	s_cmp_eq_u64 s[0:1], s[4:5]
	s_cbranch_scc1 .LBB16_8
.LBB16_4:                               ; =>This Inner Loop Header: Depth=1
	s_mov_b32 s6, exec_lo
	s_wait_loadcnt 0x0
	s_barrier_signal -1
	s_barrier_wait -1
	s_wait_xcnt 0x0
	v_cmpx_eq_u64_e64 s[4:5], v[4:5]
; %bb.5:                                ;   in Loop: Header=BB16_4 Depth=1
	ds_store_2addr_b64 v14, v[0:1], v[2:3] offset1:1
; %bb.6:                                ;   in Loop: Header=BB16_4 Depth=1
	s_or_b32 exec_lo, exec_lo, s6
	v_mov_b64_e32 v[12:13], 0
	v_mov_b64_e32 v[8:9], 0
	s_mov_b32 s6, exec_lo
	s_wait_dscnt 0x0
	s_barrier_signal -1
	s_barrier_wait -1
	v_cmpx_lt_u64_e64 s[4:5], v[4:5]
	s_cbranch_execz .LBB16_3
; %bb.7:                                ;   in Loop: Header=BB16_4 Depth=1
	global_load_b128 v[16:19], v[10:11], off offset:-8
	ds_load_2addr_b64 v[20:23], v14 offset1:1
	s_wait_loadcnt_dscnt 0x0
	v_mul_f64_e32 v[8:9], v[18:19], v[22:23]
	v_mul_f64_e32 v[12:13], v[18:19], v[20:21]
	s_delay_alu instid0(VALU_DEP_2) | instskip(NEXT) | instid1(VALU_DEP_2)
	v_fmac_f64_e32 v[8:9], v[16:17], v[20:21]
	v_fma_f64 v[12:13], v[16:17], v[22:23], -v[12:13]
	s_branch .LBB16_3
.LBB16_8:
	s_wait_loadcnt 0x0
	global_store_b128 v[6:7], v[0:3], off
.LBB16_9:
	s_endpgm
	.section	.rodata,"a",@progbits
	.p2align	6, 0x0
	.amdhsa_kernel _ZN9rocsolver6v33100L37conj_unit_forward_substitution_kernelI19rocblas_complex_numIdElPS3_EEvT0_S5_T1_S5_S5_llS6_S5_S5_ll
		.amdhsa_group_segment_fixed_size 0
		.amdhsa_private_segment_fixed_size 0
		.amdhsa_kernarg_size 352
		.amdhsa_user_sgpr_count 2
		.amdhsa_user_sgpr_dispatch_ptr 0
		.amdhsa_user_sgpr_queue_ptr 0
		.amdhsa_user_sgpr_kernarg_segment_ptr 1
		.amdhsa_user_sgpr_dispatch_id 0
		.amdhsa_user_sgpr_kernarg_preload_length 0
		.amdhsa_user_sgpr_kernarg_preload_offset 0
		.amdhsa_user_sgpr_private_segment_size 0
		.amdhsa_wavefront_size32 1
		.amdhsa_uses_dynamic_stack 0
		.amdhsa_enable_private_segment 0
		.amdhsa_system_sgpr_workgroup_id_x 1
		.amdhsa_system_sgpr_workgroup_id_y 1
		.amdhsa_system_sgpr_workgroup_id_z 1
		.amdhsa_system_sgpr_workgroup_info 0
		.amdhsa_system_vgpr_workitem_id 1
		.amdhsa_next_free_vgpr 24
		.amdhsa_next_free_sgpr 28
		.amdhsa_named_barrier_count 0
		.amdhsa_reserve_vcc 1
		.amdhsa_float_round_mode_32 0
		.amdhsa_float_round_mode_16_64 0
		.amdhsa_float_denorm_mode_32 3
		.amdhsa_float_denorm_mode_16_64 3
		.amdhsa_fp16_overflow 0
		.amdhsa_memory_ordered 1
		.amdhsa_forward_progress 1
		.amdhsa_inst_pref_size 5
		.amdhsa_round_robin_scheduling 0
		.amdhsa_exception_fp_ieee_invalid_op 0
		.amdhsa_exception_fp_denorm_src 0
		.amdhsa_exception_fp_ieee_div_zero 0
		.amdhsa_exception_fp_ieee_overflow 0
		.amdhsa_exception_fp_ieee_underflow 0
		.amdhsa_exception_fp_ieee_inexact 0
		.amdhsa_exception_int_div_zero 0
	.end_amdhsa_kernel
	.section	.text._ZN9rocsolver6v33100L37conj_unit_forward_substitution_kernelI19rocblas_complex_numIdElPS3_EEvT0_S5_T1_S5_S5_llS6_S5_S5_ll,"axG",@progbits,_ZN9rocsolver6v33100L37conj_unit_forward_substitution_kernelI19rocblas_complex_numIdElPS3_EEvT0_S5_T1_S5_S5_llS6_S5_S5_ll,comdat
.Lfunc_end16:
	.size	_ZN9rocsolver6v33100L37conj_unit_forward_substitution_kernelI19rocblas_complex_numIdElPS3_EEvT0_S5_T1_S5_S5_llS6_S5_S5_ll, .Lfunc_end16-_ZN9rocsolver6v33100L37conj_unit_forward_substitution_kernelI19rocblas_complex_numIdElPS3_EEvT0_S5_T1_S5_S5_llS6_S5_S5_ll
                                        ; -- End function
	.set _ZN9rocsolver6v33100L37conj_unit_forward_substitution_kernelI19rocblas_complex_numIdElPS3_EEvT0_S5_T1_S5_S5_llS6_S5_S5_ll.num_vgpr, 24
	.set _ZN9rocsolver6v33100L37conj_unit_forward_substitution_kernelI19rocblas_complex_numIdElPS3_EEvT0_S5_T1_S5_S5_llS6_S5_S5_ll.num_agpr, 0
	.set _ZN9rocsolver6v33100L37conj_unit_forward_substitution_kernelI19rocblas_complex_numIdElPS3_EEvT0_S5_T1_S5_S5_llS6_S5_S5_ll.numbered_sgpr, 28
	.set _ZN9rocsolver6v33100L37conj_unit_forward_substitution_kernelI19rocblas_complex_numIdElPS3_EEvT0_S5_T1_S5_S5_llS6_S5_S5_ll.num_named_barrier, 0
	.set _ZN9rocsolver6v33100L37conj_unit_forward_substitution_kernelI19rocblas_complex_numIdElPS3_EEvT0_S5_T1_S5_S5_llS6_S5_S5_ll.private_seg_size, 0
	.set _ZN9rocsolver6v33100L37conj_unit_forward_substitution_kernelI19rocblas_complex_numIdElPS3_EEvT0_S5_T1_S5_S5_llS6_S5_S5_ll.uses_vcc, 1
	.set _ZN9rocsolver6v33100L37conj_unit_forward_substitution_kernelI19rocblas_complex_numIdElPS3_EEvT0_S5_T1_S5_S5_llS6_S5_S5_ll.uses_flat_scratch, 0
	.set _ZN9rocsolver6v33100L37conj_unit_forward_substitution_kernelI19rocblas_complex_numIdElPS3_EEvT0_S5_T1_S5_S5_llS6_S5_S5_ll.has_dyn_sized_stack, 0
	.set _ZN9rocsolver6v33100L37conj_unit_forward_substitution_kernelI19rocblas_complex_numIdElPS3_EEvT0_S5_T1_S5_S5_llS6_S5_S5_ll.has_recursion, 0
	.set _ZN9rocsolver6v33100L37conj_unit_forward_substitution_kernelI19rocblas_complex_numIdElPS3_EEvT0_S5_T1_S5_S5_llS6_S5_S5_ll.has_indirect_call, 0
	.section	.AMDGPU.csdata,"",@progbits
; Kernel info:
; codeLenInByte = 524
; TotalNumSgprs: 30
; NumVgprs: 24
; ScratchSize: 0
; MemoryBound: 0
; FloatMode: 240
; IeeeMode: 1
; LDSByteSize: 0 bytes/workgroup (compile time only)
; SGPRBlocks: 0
; VGPRBlocks: 1
; NumSGPRsForWavesPerEU: 30
; NumVGPRsForWavesPerEU: 24
; NamedBarCnt: 0
; Occupancy: 16
; WaveLimiterHint : 0
; COMPUTE_PGM_RSRC2:SCRATCH_EN: 0
; COMPUTE_PGM_RSRC2:USER_SGPR: 2
; COMPUTE_PGM_RSRC2:TRAP_HANDLER: 0
; COMPUTE_PGM_RSRC2:TGID_X_EN: 1
; COMPUTE_PGM_RSRC2:TGID_Y_EN: 1
; COMPUTE_PGM_RSRC2:TGID_Z_EN: 1
; COMPUTE_PGM_RSRC2:TIDIG_COMP_CNT: 1
	.section	.text._ZN9rocsolver6v33100L40conj_nonunit_forward_substitution_kernelI19rocblas_complex_numIdElPS3_EEvT0_S5_T1_S5_S5_llS6_S5_S5_ll,"axG",@progbits,_ZN9rocsolver6v33100L40conj_nonunit_forward_substitution_kernelI19rocblas_complex_numIdElPS3_EEvT0_S5_T1_S5_S5_llS6_S5_S5_ll,comdat
	.globl	_ZN9rocsolver6v33100L40conj_nonunit_forward_substitution_kernelI19rocblas_complex_numIdElPS3_EEvT0_S5_T1_S5_S5_llS6_S5_S5_ll ; -- Begin function _ZN9rocsolver6v33100L40conj_nonunit_forward_substitution_kernelI19rocblas_complex_numIdElPS3_EEvT0_S5_T1_S5_S5_llS6_S5_S5_ll
	.p2align	8
	.type	_ZN9rocsolver6v33100L40conj_nonunit_forward_substitution_kernelI19rocblas_complex_numIdElPS3_EEvT0_S5_T1_S5_S5_llS6_S5_S5_ll,@function
_ZN9rocsolver6v33100L40conj_nonunit_forward_substitution_kernelI19rocblas_complex_numIdElPS3_EEvT0_S5_T1_S5_S5_llS6_S5_S5_ll: ; @_ZN9rocsolver6v33100L40conj_nonunit_forward_substitution_kernelI19rocblas_complex_numIdElPS3_EEvT0_S5_T1_S5_S5_llS6_S5_S5_ll
; %bb.0:
	s_clause 0x1
	s_load_u16 s3, s[0:1], 0x6e
	s_load_b512 s[4:19], s[0:1], 0x0
	s_bfe_u32 s2, ttmp6, 0x40010
	v_mov_b32_e32 v11, 0
	s_and_b32 s20, ttmp7, 0xffff
	s_add_co_i32 s2, s2, 1
	s_bfe_u32 s22, ttmp6, 0x40004
	s_mul_i32 s21, s20, s2
	s_getreg_b32 s2, hwreg(HW_REG_IB_STS2, 6, 4)
	v_bfe_u32 v4, v0, 10, 10
	v_mov_b32_e32 v5, v11
	s_add_co_i32 s22, s22, s21
	s_cmp_eq_u32 s2, 0
	s_cselect_b32 s20, s20, s22
	s_wait_kmcnt 0x0
	v_mad_nc_u64_u32 v[2:3], s3, s20, v[4:5]
	s_mov_b32 s3, 0
	s_delay_alu instid0(VALU_DEP_1)
	v_cmp_gt_i64_e32 vcc_lo, s[6:7], v[2:3]
	s_and_saveexec_b32 s6, vcc_lo
	s_cbranch_execz .LBB17_19
; %bb.1:
	s_load_b256 s[20:27], s[0:1], 0x40
	v_and_b32_e32 v10, 0x3ff, v0
	s_wait_xcnt 0x0
	s_bfe_u32 s0, ttmp6, 0x40014
	s_lshr_b32 s1, ttmp7, 16
	s_add_co_i32 s0, s0, 1
	s_bfe_u32 s6, ttmp6, 0x40008
	s_mul_i32 s0, s1, s0
	s_delay_alu instid0(SALU_CYCLE_1)
	s_add_co_i32 s6, s6, s0
	s_cmp_eq_u32 s2, 0
	s_cselect_b32 s2, s1, s6
	s_lshl_b64 s[14:15], s[14:15], 4
	s_wait_kmcnt 0x0
	v_mul_u64_e32 v[0:1], s[20:21], v[10:11]
	v_mul_u64_e32 v[2:3], s[22:23], v[2:3]
	s_mul_u64 s[0:1], s[26:27], s[2:3]
	s_lshl_b64 s[6:7], s[24:25], 4
	s_lshl_b64 s[0:1], s[0:1], 4
	s_delay_alu instid0(SALU_CYCLE_1) | instskip(NEXT) | instid1(SALU_CYCLE_1)
	s_add_nc_u64 s[0:1], s[18:19], s[0:1]
	s_add_nc_u64 s[0:1], s[0:1], s[6:7]
	s_delay_alu instid0(VALU_DEP_2) | instid1(SALU_CYCLE_1)
	v_lshl_add_u64 v[0:1], v[0:1], 4, s[0:1]
	s_add_nc_u64 s[0:1], s[12:13], s[10:11]
	s_delay_alu instid0(SALU_CYCLE_1) | instskip(SKIP_1) | instid1(VALU_DEP_2)
	v_mul_u64_e32 v[12:13], s[0:1], v[10:11]
	s_mul_u64 s[0:1], s[16:17], s[2:3]
	v_lshl_add_u64 v[8:9], v[2:3], 4, v[0:1]
	v_cmp_lt_i64_e64 s2, s[4:5], 2
	s_lshl_b64 s[6:7], s[0:1], 4
	s_delay_alu instid0(SALU_CYCLE_1)
	s_add_nc_u64 s[0:1], s[8:9], s[6:7]
	global_load_b128 v[0:3], v[8:9], off
	s_add_nc_u64 s[0:1], s[0:1], s[14:15]
	s_and_b32 vcc_lo, exec_lo, s2
	s_add_nc_u64 s[2:3], s[4:5], -1
	s_cbranch_vccnz .LBB17_12
; %bb.2:
	v_mul_u64_e32 v[6:7], s[10:11], v[10:11]
	s_add_nc_u64 s[4:5], s[8:9], s[14:15]
	v_lshl_add_u64 v[16:17], v[12:13], 4, s[0:1]
	s_add_nc_u64 s[4:5], s[4:5], s[6:7]
	v_lshl_add_u32 v18, v4, 4, 0
	s_mov_b64 s[6:7], 0
	s_delay_alu instid0(VALU_DEP_3) | instskip(SKIP_1) | instid1(VALU_DEP_1)
	v_lshl_add_u64 v[6:7], v[6:7], 4, s[4:5]
	s_lshl_b64 s[4:5], s[12:13], 4
	v_add_nc_u64_e32 v[14:15], 8, v[6:7]
	s_branch .LBB17_4
.LBB17_3:                               ;   in Loop: Header=BB17_4 Depth=1
	s_or_b32 exec_lo, exec_lo, s8
	s_delay_alu instid0(VALU_DEP_2) | instskip(NEXT) | instid1(VALU_DEP_2)
	v_add_f64_e64 v[0:1], v[0:1], -v[4:5]
	v_add_f64_e64 v[2:3], v[2:3], -v[6:7]
	v_add_nc_u64_e32 v[14:15], s[4:5], v[14:15]
	s_add_nc_u64 s[6:7], s[6:7], 1
	s_delay_alu instid0(SALU_CYCLE_1)
	s_cmp_eq_u64 s[2:3], s[6:7]
	s_cbranch_scc1 .LBB17_12
.LBB17_4:                               ; =>This Inner Loop Header: Depth=1
	s_mov_b32 s8, exec_lo
	s_wait_loadcnt 0x0
	s_barrier_signal -1
	s_barrier_wait -1
	s_wait_xcnt 0x0
	v_cmpx_eq_u64_e64 s[6:7], v[10:11]
	s_cbranch_execz .LBB17_10
; %bb.5:                                ;   in Loop: Header=BB17_4 Depth=1
	global_load_b128 v[4:7], v[16:17], off
	s_wait_loadcnt 0x0
	v_cmp_ngt_f64_e64 s9, |v[4:5]|, |v[6:7]|
	s_and_saveexec_b32 s10, s9
	s_delay_alu instid0(SALU_CYCLE_1)
	s_xor_b32 s9, exec_lo, s10
	s_cbranch_execz .LBB17_7
; %bb.6:                                ;   in Loop: Header=BB17_4 Depth=1
	v_div_scale_f64 v[20:21], null, -v[6:7], -v[6:7], v[4:5]
	v_div_scale_f64 v[26:27], vcc_lo, v[4:5], -v[6:7], v[4:5]
	s_delay_alu instid0(VALU_DEP_2) | instskip(SKIP_1) | instid1(TRANS32_DEP_1)
	v_rcp_f64_e32 v[22:23], v[20:21]
	v_nop
	v_fma_f64 v[24:25], -v[20:21], v[22:23], 1.0
	s_delay_alu instid0(VALU_DEP_1) | instskip(NEXT) | instid1(VALU_DEP_1)
	v_fmac_f64_e32 v[22:23], v[22:23], v[24:25]
	v_fma_f64 v[24:25], -v[20:21], v[22:23], 1.0
	s_delay_alu instid0(VALU_DEP_1) | instskip(NEXT) | instid1(VALU_DEP_1)
	v_fmac_f64_e32 v[22:23], v[22:23], v[24:25]
	v_mul_f64_e32 v[24:25], v[26:27], v[22:23]
	s_delay_alu instid0(VALU_DEP_1) | instskip(NEXT) | instid1(VALU_DEP_1)
	v_fma_f64 v[20:21], -v[20:21], v[24:25], v[26:27]
	v_div_fmas_f64 v[20:21], v[20:21], v[22:23], v[24:25]
	s_delay_alu instid0(VALU_DEP_1) | instskip(NEXT) | instid1(VALU_DEP_1)
	v_div_fixup_f64 v[20:21], v[20:21], -v[6:7], v[4:5]
	v_fma_f64 v[4:5], v[4:5], v[20:21], -v[6:7]
	s_delay_alu instid0(VALU_DEP_1) | instskip(SKIP_1) | instid1(VALU_DEP_2)
	v_div_scale_f64 v[6:7], null, v[4:5], v[4:5], 1.0
	v_div_scale_f64 v[26:27], vcc_lo, 1.0, v[4:5], 1.0
	v_rcp_f64_e32 v[22:23], v[6:7]
	v_nop
	s_delay_alu instid0(TRANS32_DEP_1) | instskip(NEXT) | instid1(VALU_DEP_1)
	v_fma_f64 v[24:25], -v[6:7], v[22:23], 1.0
	v_fmac_f64_e32 v[22:23], v[22:23], v[24:25]
	s_delay_alu instid0(VALU_DEP_1) | instskip(NEXT) | instid1(VALU_DEP_1)
	v_fma_f64 v[24:25], -v[6:7], v[22:23], 1.0
	v_fmac_f64_e32 v[22:23], v[22:23], v[24:25]
	s_delay_alu instid0(VALU_DEP_1) | instskip(NEXT) | instid1(VALU_DEP_1)
	v_mul_f64_e32 v[24:25], v[26:27], v[22:23]
	v_fma_f64 v[6:7], -v[6:7], v[24:25], v[26:27]
	s_delay_alu instid0(VALU_DEP_1) | instskip(NEXT) | instid1(VALU_DEP_1)
	v_div_fmas_f64 v[6:7], v[6:7], v[22:23], v[24:25]
	v_div_fixup_f64 v[4:5], v[6:7], v[4:5], 1.0
	v_fma_f64 v[6:7], v[0:1], v[20:21], v[2:3]
	v_fma_f64 v[0:1], v[2:3], v[20:21], -v[0:1]
	s_delay_alu instid0(VALU_DEP_2) | instskip(NEXT) | instid1(VALU_DEP_2)
	v_mul_f64_e32 v[6:7], v[6:7], v[4:5]
	v_mul_f64_e32 v[2:3], v[0:1], v[4:5]
	s_delay_alu instid0(VALU_DEP_2)
	v_mov_b64_e32 v[0:1], v[6:7]
                                        ; implicit-def: $vgpr4_vgpr5
.LBB17_7:                               ;   in Loop: Header=BB17_4 Depth=1
	s_and_not1_saveexec_b32 s9, s9
	s_cbranch_execz .LBB17_9
; %bb.8:                                ;   in Loop: Header=BB17_4 Depth=1
	v_div_scale_f64 v[20:21], null, v[4:5], v[4:5], -v[6:7]
	v_div_scale_f64 v[26:27], vcc_lo, -v[6:7], v[4:5], -v[6:7]
	s_delay_alu instid0(VALU_DEP_2) | instskip(SKIP_1) | instid1(TRANS32_DEP_1)
	v_rcp_f64_e32 v[22:23], v[20:21]
	v_nop
	v_fma_f64 v[24:25], -v[20:21], v[22:23], 1.0
	s_delay_alu instid0(VALU_DEP_1) | instskip(NEXT) | instid1(VALU_DEP_1)
	v_fmac_f64_e32 v[22:23], v[22:23], v[24:25]
	v_fma_f64 v[24:25], -v[20:21], v[22:23], 1.0
	s_delay_alu instid0(VALU_DEP_1) | instskip(NEXT) | instid1(VALU_DEP_1)
	v_fmac_f64_e32 v[22:23], v[22:23], v[24:25]
	v_mul_f64_e32 v[24:25], v[26:27], v[22:23]
	s_delay_alu instid0(VALU_DEP_1) | instskip(NEXT) | instid1(VALU_DEP_1)
	v_fma_f64 v[20:21], -v[20:21], v[24:25], v[26:27]
	v_div_fmas_f64 v[20:21], v[20:21], v[22:23], v[24:25]
	s_delay_alu instid0(VALU_DEP_1) | instskip(NEXT) | instid1(VALU_DEP_1)
	v_div_fixup_f64 v[20:21], v[20:21], v[4:5], -v[6:7]
	v_fma_f64 v[4:5], -v[6:7], v[20:21], v[4:5]
	s_delay_alu instid0(VALU_DEP_1) | instskip(SKIP_1) | instid1(VALU_DEP_2)
	v_div_scale_f64 v[6:7], null, v[4:5], v[4:5], 1.0
	v_div_scale_f64 v[26:27], vcc_lo, 1.0, v[4:5], 1.0
	v_rcp_f64_e32 v[22:23], v[6:7]
	v_nop
	s_delay_alu instid0(TRANS32_DEP_1) | instskip(NEXT) | instid1(VALU_DEP_1)
	v_fma_f64 v[24:25], -v[6:7], v[22:23], 1.0
	v_fmac_f64_e32 v[22:23], v[22:23], v[24:25]
	s_delay_alu instid0(VALU_DEP_1) | instskip(NEXT) | instid1(VALU_DEP_1)
	v_fma_f64 v[24:25], -v[6:7], v[22:23], 1.0
	v_fmac_f64_e32 v[22:23], v[22:23], v[24:25]
	s_delay_alu instid0(VALU_DEP_1) | instskip(NEXT) | instid1(VALU_DEP_1)
	v_mul_f64_e32 v[24:25], v[26:27], v[22:23]
	v_fma_f64 v[6:7], -v[6:7], v[24:25], v[26:27]
	s_delay_alu instid0(VALU_DEP_1) | instskip(NEXT) | instid1(VALU_DEP_1)
	v_div_fmas_f64 v[6:7], v[6:7], v[22:23], v[24:25]
	v_div_fixup_f64 v[4:5], v[6:7], v[4:5], 1.0
	v_fma_f64 v[6:7], v[2:3], v[20:21], v[0:1]
	v_fma_f64 v[0:1], -v[0:1], v[20:21], v[2:3]
	s_delay_alu instid0(VALU_DEP_2) | instskip(NEXT) | instid1(VALU_DEP_2)
	v_mul_f64_e32 v[6:7], v[6:7], v[4:5]
	v_mul_f64_e32 v[2:3], v[0:1], v[4:5]
	s_delay_alu instid0(VALU_DEP_2)
	v_mov_b64_e32 v[0:1], v[6:7]
.LBB17_9:                               ;   in Loop: Header=BB17_4 Depth=1
	s_or_b32 exec_lo, exec_lo, s9
	ds_store_2addr_b64 v18, v[0:1], v[2:3] offset1:1
.LBB17_10:                              ;   in Loop: Header=BB17_4 Depth=1
	s_or_b32 exec_lo, exec_lo, s8
	v_mov_b64_e32 v[4:5], 0
	v_mov_b64_e32 v[6:7], 0
	s_mov_b32 s8, exec_lo
	s_wait_dscnt 0x0
	s_barrier_signal -1
	s_barrier_wait -1
	v_cmpx_lt_u64_e64 s[6:7], v[10:11]
	s_cbranch_execz .LBB17_3
; %bb.11:                               ;   in Loop: Header=BB17_4 Depth=1
	global_load_b128 v[20:23], v[14:15], off offset:-8
	ds_load_2addr_b64 v[24:27], v18 offset1:1
	s_wait_loadcnt_dscnt 0x0
	v_mul_f64_e32 v[4:5], v[22:23], v[26:27]
	v_mul_f64_e32 v[6:7], v[22:23], v[24:25]
	s_delay_alu instid0(VALU_DEP_2) | instskip(NEXT) | instid1(VALU_DEP_2)
	v_fmac_f64_e32 v[4:5], v[20:21], v[24:25]
	v_fma_f64 v[6:7], v[20:21], v[26:27], -v[6:7]
	s_branch .LBB17_3
.LBB17_12:
	v_cmp_eq_u64_e32 vcc_lo, s[2:3], v[10:11]
	s_wait_xcnt 0x0
	s_and_saveexec_b32 s2, vcc_lo
	s_cbranch_execz .LBB17_18
; %bb.13:
	v_lshl_add_u64 v[4:5], v[12:13], 4, s[0:1]
	global_load_b128 v[4:7], v[4:5], off
	s_wait_loadcnt 0x0
	v_cmp_ngt_f64_e64 s0, |v[4:5]|, |v[6:7]|
	s_and_saveexec_b32 s1, s0
	s_delay_alu instid0(SALU_CYCLE_1)
	s_xor_b32 s0, exec_lo, s1
	s_cbranch_execz .LBB17_15
; %bb.14:
	v_div_scale_f64 v[10:11], null, -v[6:7], -v[6:7], v[4:5]
	v_div_scale_f64 v[16:17], vcc_lo, v[4:5], -v[6:7], v[4:5]
	s_delay_alu instid0(VALU_DEP_2) | instskip(SKIP_1) | instid1(TRANS32_DEP_1)
	v_rcp_f64_e32 v[12:13], v[10:11]
	v_nop
	v_fma_f64 v[14:15], -v[10:11], v[12:13], 1.0
	s_delay_alu instid0(VALU_DEP_1) | instskip(NEXT) | instid1(VALU_DEP_1)
	v_fmac_f64_e32 v[12:13], v[12:13], v[14:15]
	v_fma_f64 v[14:15], -v[10:11], v[12:13], 1.0
	s_delay_alu instid0(VALU_DEP_1) | instskip(NEXT) | instid1(VALU_DEP_1)
	v_fmac_f64_e32 v[12:13], v[12:13], v[14:15]
	v_mul_f64_e32 v[14:15], v[16:17], v[12:13]
	s_delay_alu instid0(VALU_DEP_1) | instskip(NEXT) | instid1(VALU_DEP_1)
	v_fma_f64 v[10:11], -v[10:11], v[14:15], v[16:17]
	v_div_fmas_f64 v[10:11], v[10:11], v[12:13], v[14:15]
	s_delay_alu instid0(VALU_DEP_1) | instskip(NEXT) | instid1(VALU_DEP_1)
	v_div_fixup_f64 v[10:11], v[10:11], -v[6:7], v[4:5]
	v_fma_f64 v[4:5], v[4:5], v[10:11], -v[6:7]
	s_delay_alu instid0(VALU_DEP_1) | instskip(SKIP_1) | instid1(VALU_DEP_2)
	v_div_scale_f64 v[6:7], null, v[4:5], v[4:5], 1.0
	v_div_scale_f64 v[16:17], vcc_lo, 1.0, v[4:5], 1.0
	v_rcp_f64_e32 v[12:13], v[6:7]
	v_nop
	s_delay_alu instid0(TRANS32_DEP_1) | instskip(NEXT) | instid1(VALU_DEP_1)
	v_fma_f64 v[14:15], -v[6:7], v[12:13], 1.0
	v_fmac_f64_e32 v[12:13], v[12:13], v[14:15]
	s_delay_alu instid0(VALU_DEP_1) | instskip(NEXT) | instid1(VALU_DEP_1)
	v_fma_f64 v[14:15], -v[6:7], v[12:13], 1.0
	v_fmac_f64_e32 v[12:13], v[12:13], v[14:15]
	s_delay_alu instid0(VALU_DEP_1) | instskip(NEXT) | instid1(VALU_DEP_1)
	v_mul_f64_e32 v[14:15], v[16:17], v[12:13]
	v_fma_f64 v[6:7], -v[6:7], v[14:15], v[16:17]
	s_delay_alu instid0(VALU_DEP_1) | instskip(NEXT) | instid1(VALU_DEP_1)
	v_div_fmas_f64 v[6:7], v[6:7], v[12:13], v[14:15]
	v_div_fixup_f64 v[4:5], v[6:7], v[4:5], 1.0
	v_fma_f64 v[6:7], v[0:1], v[10:11], v[2:3]
	v_fma_f64 v[0:1], v[2:3], v[10:11], -v[0:1]
	s_delay_alu instid0(VALU_DEP_2) | instskip(NEXT) | instid1(VALU_DEP_2)
	v_mul_f64_e32 v[6:7], v[6:7], v[4:5]
	v_mul_f64_e32 v[2:3], v[0:1], v[4:5]
	s_delay_alu instid0(VALU_DEP_2)
	v_mov_b64_e32 v[0:1], v[6:7]
                                        ; implicit-def: $vgpr4_vgpr5
.LBB17_15:
	s_and_not1_saveexec_b32 s0, s0
	s_cbranch_execz .LBB17_17
; %bb.16:
	v_div_scale_f64 v[10:11], null, v[4:5], v[4:5], -v[6:7]
	v_div_scale_f64 v[16:17], vcc_lo, -v[6:7], v[4:5], -v[6:7]
	s_delay_alu instid0(VALU_DEP_2) | instskip(SKIP_1) | instid1(TRANS32_DEP_1)
	v_rcp_f64_e32 v[12:13], v[10:11]
	v_nop
	v_fma_f64 v[14:15], -v[10:11], v[12:13], 1.0
	s_delay_alu instid0(VALU_DEP_1) | instskip(NEXT) | instid1(VALU_DEP_1)
	v_fmac_f64_e32 v[12:13], v[12:13], v[14:15]
	v_fma_f64 v[14:15], -v[10:11], v[12:13], 1.0
	s_delay_alu instid0(VALU_DEP_1) | instskip(NEXT) | instid1(VALU_DEP_1)
	v_fmac_f64_e32 v[12:13], v[12:13], v[14:15]
	v_mul_f64_e32 v[14:15], v[16:17], v[12:13]
	s_delay_alu instid0(VALU_DEP_1) | instskip(NEXT) | instid1(VALU_DEP_1)
	v_fma_f64 v[10:11], -v[10:11], v[14:15], v[16:17]
	v_div_fmas_f64 v[10:11], v[10:11], v[12:13], v[14:15]
	s_delay_alu instid0(VALU_DEP_1) | instskip(NEXT) | instid1(VALU_DEP_1)
	v_div_fixup_f64 v[10:11], v[10:11], v[4:5], -v[6:7]
	v_fma_f64 v[4:5], -v[6:7], v[10:11], v[4:5]
	s_delay_alu instid0(VALU_DEP_1) | instskip(SKIP_1) | instid1(VALU_DEP_2)
	v_div_scale_f64 v[6:7], null, v[4:5], v[4:5], 1.0
	v_div_scale_f64 v[16:17], vcc_lo, 1.0, v[4:5], 1.0
	v_rcp_f64_e32 v[12:13], v[6:7]
	v_nop
	s_delay_alu instid0(TRANS32_DEP_1) | instskip(NEXT) | instid1(VALU_DEP_1)
	v_fma_f64 v[14:15], -v[6:7], v[12:13], 1.0
	v_fmac_f64_e32 v[12:13], v[12:13], v[14:15]
	s_delay_alu instid0(VALU_DEP_1) | instskip(NEXT) | instid1(VALU_DEP_1)
	v_fma_f64 v[14:15], -v[6:7], v[12:13], 1.0
	v_fmac_f64_e32 v[12:13], v[12:13], v[14:15]
	s_delay_alu instid0(VALU_DEP_1) | instskip(NEXT) | instid1(VALU_DEP_1)
	v_mul_f64_e32 v[14:15], v[16:17], v[12:13]
	v_fma_f64 v[6:7], -v[6:7], v[14:15], v[16:17]
	s_delay_alu instid0(VALU_DEP_1) | instskip(NEXT) | instid1(VALU_DEP_1)
	v_div_fmas_f64 v[6:7], v[6:7], v[12:13], v[14:15]
	v_div_fixup_f64 v[4:5], v[6:7], v[4:5], 1.0
	v_fma_f64 v[6:7], v[2:3], v[10:11], v[0:1]
	v_fma_f64 v[0:1], -v[0:1], v[10:11], v[2:3]
	s_delay_alu instid0(VALU_DEP_2) | instskip(NEXT) | instid1(VALU_DEP_2)
	v_mul_f64_e32 v[6:7], v[6:7], v[4:5]
	v_mul_f64_e32 v[2:3], v[0:1], v[4:5]
	s_delay_alu instid0(VALU_DEP_2)
	v_mov_b64_e32 v[0:1], v[6:7]
.LBB17_17:
	s_or_b32 exec_lo, exec_lo, s0
.LBB17_18:
	s_delay_alu instid0(SALU_CYCLE_1)
	s_or_b32 exec_lo, exec_lo, s2
	s_wait_loadcnt 0x0
	global_store_b128 v[8:9], v[0:3], off
.LBB17_19:
	s_endpgm
	.section	.rodata,"a",@progbits
	.p2align	6, 0x0
	.amdhsa_kernel _ZN9rocsolver6v33100L40conj_nonunit_forward_substitution_kernelI19rocblas_complex_numIdElPS3_EEvT0_S5_T1_S5_S5_llS6_S5_S5_ll
		.amdhsa_group_segment_fixed_size 0
		.amdhsa_private_segment_fixed_size 0
		.amdhsa_kernarg_size 352
		.amdhsa_user_sgpr_count 2
		.amdhsa_user_sgpr_dispatch_ptr 0
		.amdhsa_user_sgpr_queue_ptr 0
		.amdhsa_user_sgpr_kernarg_segment_ptr 1
		.amdhsa_user_sgpr_dispatch_id 0
		.amdhsa_user_sgpr_kernarg_preload_length 0
		.amdhsa_user_sgpr_kernarg_preload_offset 0
		.amdhsa_user_sgpr_private_segment_size 0
		.amdhsa_wavefront_size32 1
		.amdhsa_uses_dynamic_stack 0
		.amdhsa_enable_private_segment 0
		.amdhsa_system_sgpr_workgroup_id_x 1
		.amdhsa_system_sgpr_workgroup_id_y 1
		.amdhsa_system_sgpr_workgroup_id_z 1
		.amdhsa_system_sgpr_workgroup_info 0
		.amdhsa_system_vgpr_workitem_id 1
		.amdhsa_next_free_vgpr 28
		.amdhsa_next_free_sgpr 28
		.amdhsa_named_barrier_count 0
		.amdhsa_reserve_vcc 1
		.amdhsa_float_round_mode_32 0
		.amdhsa_float_round_mode_16_64 0
		.amdhsa_float_denorm_mode_32 3
		.amdhsa_float_denorm_mode_16_64 3
		.amdhsa_fp16_overflow 0
		.amdhsa_memory_ordered 1
		.amdhsa_forward_progress 1
		.amdhsa_inst_pref_size 13
		.amdhsa_round_robin_scheduling 0
		.amdhsa_exception_fp_ieee_invalid_op 0
		.amdhsa_exception_fp_denorm_src 0
		.amdhsa_exception_fp_ieee_div_zero 0
		.amdhsa_exception_fp_ieee_overflow 0
		.amdhsa_exception_fp_ieee_underflow 0
		.amdhsa_exception_fp_ieee_inexact 0
		.amdhsa_exception_int_div_zero 0
	.end_amdhsa_kernel
	.section	.text._ZN9rocsolver6v33100L40conj_nonunit_forward_substitution_kernelI19rocblas_complex_numIdElPS3_EEvT0_S5_T1_S5_S5_llS6_S5_S5_ll,"axG",@progbits,_ZN9rocsolver6v33100L40conj_nonunit_forward_substitution_kernelI19rocblas_complex_numIdElPS3_EEvT0_S5_T1_S5_S5_llS6_S5_S5_ll,comdat
.Lfunc_end17:
	.size	_ZN9rocsolver6v33100L40conj_nonunit_forward_substitution_kernelI19rocblas_complex_numIdElPS3_EEvT0_S5_T1_S5_S5_llS6_S5_S5_ll, .Lfunc_end17-_ZN9rocsolver6v33100L40conj_nonunit_forward_substitution_kernelI19rocblas_complex_numIdElPS3_EEvT0_S5_T1_S5_S5_llS6_S5_S5_ll
                                        ; -- End function
	.set _ZN9rocsolver6v33100L40conj_nonunit_forward_substitution_kernelI19rocblas_complex_numIdElPS3_EEvT0_S5_T1_S5_S5_llS6_S5_S5_ll.num_vgpr, 28
	.set _ZN9rocsolver6v33100L40conj_nonunit_forward_substitution_kernelI19rocblas_complex_numIdElPS3_EEvT0_S5_T1_S5_S5_llS6_S5_S5_ll.num_agpr, 0
	.set _ZN9rocsolver6v33100L40conj_nonunit_forward_substitution_kernelI19rocblas_complex_numIdElPS3_EEvT0_S5_T1_S5_S5_llS6_S5_S5_ll.numbered_sgpr, 28
	.set _ZN9rocsolver6v33100L40conj_nonunit_forward_substitution_kernelI19rocblas_complex_numIdElPS3_EEvT0_S5_T1_S5_S5_llS6_S5_S5_ll.num_named_barrier, 0
	.set _ZN9rocsolver6v33100L40conj_nonunit_forward_substitution_kernelI19rocblas_complex_numIdElPS3_EEvT0_S5_T1_S5_S5_llS6_S5_S5_ll.private_seg_size, 0
	.set _ZN9rocsolver6v33100L40conj_nonunit_forward_substitution_kernelI19rocblas_complex_numIdElPS3_EEvT0_S5_T1_S5_S5_llS6_S5_S5_ll.uses_vcc, 1
	.set _ZN9rocsolver6v33100L40conj_nonunit_forward_substitution_kernelI19rocblas_complex_numIdElPS3_EEvT0_S5_T1_S5_S5_llS6_S5_S5_ll.uses_flat_scratch, 0
	.set _ZN9rocsolver6v33100L40conj_nonunit_forward_substitution_kernelI19rocblas_complex_numIdElPS3_EEvT0_S5_T1_S5_S5_llS6_S5_S5_ll.has_dyn_sized_stack, 0
	.set _ZN9rocsolver6v33100L40conj_nonunit_forward_substitution_kernelI19rocblas_complex_numIdElPS3_EEvT0_S5_T1_S5_S5_llS6_S5_S5_ll.has_recursion, 0
	.set _ZN9rocsolver6v33100L40conj_nonunit_forward_substitution_kernelI19rocblas_complex_numIdElPS3_EEvT0_S5_T1_S5_S5_llS6_S5_S5_ll.has_indirect_call, 0
	.section	.AMDGPU.csdata,"",@progbits
; Kernel info:
; codeLenInByte = 1636
; TotalNumSgprs: 30
; NumVgprs: 28
; ScratchSize: 0
; MemoryBound: 0
; FloatMode: 240
; IeeeMode: 1
; LDSByteSize: 0 bytes/workgroup (compile time only)
; SGPRBlocks: 0
; VGPRBlocks: 1
; NumSGPRsForWavesPerEU: 30
; NumVGPRsForWavesPerEU: 28
; NamedBarCnt: 0
; Occupancy: 16
; WaveLimiterHint : 0
; COMPUTE_PGM_RSRC2:SCRATCH_EN: 0
; COMPUTE_PGM_RSRC2:USER_SGPR: 2
; COMPUTE_PGM_RSRC2:TRAP_HANDLER: 0
; COMPUTE_PGM_RSRC2:TGID_X_EN: 1
; COMPUTE_PGM_RSRC2:TGID_Y_EN: 1
; COMPUTE_PGM_RSRC2:TGID_Z_EN: 1
; COMPUTE_PGM_RSRC2:TIDIG_COMP_CNT: 1
	.section	.text._ZN9rocsolver6v33100L32unit_forward_substitution_kernelI19rocblas_complex_numIdElPS3_EEvT0_S5_T1_S5_S5_llS6_S5_S5_ll,"axG",@progbits,_ZN9rocsolver6v33100L32unit_forward_substitution_kernelI19rocblas_complex_numIdElPS3_EEvT0_S5_T1_S5_S5_llS6_S5_S5_ll,comdat
	.globl	_ZN9rocsolver6v33100L32unit_forward_substitution_kernelI19rocblas_complex_numIdElPS3_EEvT0_S5_T1_S5_S5_llS6_S5_S5_ll ; -- Begin function _ZN9rocsolver6v33100L32unit_forward_substitution_kernelI19rocblas_complex_numIdElPS3_EEvT0_S5_T1_S5_S5_llS6_S5_S5_ll
	.p2align	8
	.type	_ZN9rocsolver6v33100L32unit_forward_substitution_kernelI19rocblas_complex_numIdElPS3_EEvT0_S5_T1_S5_S5_llS6_S5_S5_ll,@function
_ZN9rocsolver6v33100L32unit_forward_substitution_kernelI19rocblas_complex_numIdElPS3_EEvT0_S5_T1_S5_S5_llS6_S5_S5_ll: ; @_ZN9rocsolver6v33100L32unit_forward_substitution_kernelI19rocblas_complex_numIdElPS3_EEvT0_S5_T1_S5_S5_llS6_S5_S5_ll
; %bb.0:
	s_clause 0x1
	s_load_u16 s3, s[0:1], 0x6e
	s_load_b512 s[4:19], s[0:1], 0x0
	s_bfe_u32 s2, ttmp6, 0x40010
	v_mov_b32_e32 v5, 0
	s_and_b32 s20, ttmp7, 0xffff
	s_add_co_i32 s2, s2, 1
	s_bfe_u32 s22, ttmp6, 0x40004
	s_mul_i32 s21, s20, s2
	s_getreg_b32 s2, hwreg(HW_REG_IB_STS2, 6, 4)
	v_bfe_u32 v8, v0, 10, 10
	v_mov_b32_e32 v9, v5
	s_add_co_i32 s22, s22, s21
	s_cmp_eq_u32 s2, 0
	s_cselect_b32 s20, s20, s22
	s_wait_kmcnt 0x0
	v_mad_nc_u64_u32 v[2:3], s3, s20, v[8:9]
	s_mov_b32 s3, 0
	s_delay_alu instid0(VALU_DEP_1)
	v_cmp_gt_i64_e32 vcc_lo, s[6:7], v[2:3]
	s_and_saveexec_b32 s6, vcc_lo
	s_cbranch_execz .LBB18_9
; %bb.1:
	s_load_b256 s[20:27], s[0:1], 0x40
	v_and_b32_e32 v4, 0x3ff, v0
	s_wait_xcnt 0x0
	s_bfe_u32 s0, ttmp6, 0x40014
	s_lshr_b32 s1, ttmp7, 16
	s_add_co_i32 s0, s0, 1
	s_bfe_u32 s6, ttmp6, 0x40008
	s_mul_i32 s0, s1, s0
	s_delay_alu instid0(SALU_CYCLE_1)
	s_add_co_i32 s6, s6, s0
	s_cmp_eq_u32 s2, 0
	s_cselect_b32 s2, s1, s6
	s_wait_kmcnt 0x0
	v_mul_u64_e32 v[0:1], s[20:21], v[4:5]
	v_mul_u64_e32 v[2:3], s[22:23], v[2:3]
	s_mul_u64 s[0:1], s[26:27], s[2:3]
	s_lshl_b64 s[6:7], s[24:25], 4
	s_lshl_b64 s[0:1], s[0:1], 4
	s_delay_alu instid0(SALU_CYCLE_1) | instskip(NEXT) | instid1(SALU_CYCLE_1)
	s_add_nc_u64 s[0:1], s[18:19], s[0:1]
	s_add_nc_u64 s[0:1], s[0:1], s[6:7]
	s_delay_alu instid0(VALU_DEP_2) | instid1(SALU_CYCLE_1)
	v_lshl_add_u64 v[0:1], v[0:1], 4, s[0:1]
	v_cmp_lt_i64_e64 s0, s[4:5], 2
	s_delay_alu instid0(VALU_DEP_2)
	v_lshl_add_u64 v[6:7], v[2:3], 4, v[0:1]
	s_and_b32 vcc_lo, exec_lo, s0
	global_load_b128 v[0:3], v[6:7], off
	s_cbranch_vccnz .LBB18_8
; %bb.2:
	v_mul_u64_e32 v[10:11], s[10:11], v[4:5]
	s_mul_u64 s[0:1], s[16:17], s[2:3]
	s_lshl_b64 s[2:3], s[14:15], 4
	s_lshl_b64 s[0:1], s[0:1], 4
	s_add_nc_u64 s[2:3], s[8:9], s[2:3]
	v_lshl_add_u32 v14, v8, 4, 0
	s_add_nc_u64 s[0:1], s[2:3], s[0:1]
	s_lshl_b64 s[2:3], s[12:13], 4
	s_delay_alu instid0(VALU_DEP_2) | instskip(SKIP_2) | instid1(VALU_DEP_1)
	v_lshl_add_u64 v[10:11], v[10:11], 4, s[0:1]
	s_add_nc_u64 s[0:1], s[4:5], -1
	s_mov_b64 s[4:5], 0
	v_add_nc_u64_e32 v[10:11], 8, v[10:11]
	s_branch .LBB18_4
.LBB18_3:                               ;   in Loop: Header=BB18_4 Depth=1
	s_or_b32 exec_lo, exec_lo, s6
	s_delay_alu instid0(VALU_DEP_2) | instskip(NEXT) | instid1(VALU_DEP_2)
	v_add_f64_e64 v[0:1], v[0:1], -v[12:13]
	v_add_f64_e64 v[2:3], v[2:3], -v[8:9]
	v_add_nc_u64_e32 v[10:11], s[2:3], v[10:11]
	s_add_nc_u64 s[4:5], s[4:5], 1
	s_delay_alu instid0(SALU_CYCLE_1)
	s_cmp_eq_u64 s[0:1], s[4:5]
	s_cbranch_scc1 .LBB18_8
.LBB18_4:                               ; =>This Inner Loop Header: Depth=1
	s_mov_b32 s6, exec_lo
	s_wait_loadcnt 0x0
	s_barrier_signal -1
	s_barrier_wait -1
	s_wait_xcnt 0x0
	v_cmpx_eq_u64_e64 s[4:5], v[4:5]
; %bb.5:                                ;   in Loop: Header=BB18_4 Depth=1
	ds_store_2addr_b64 v14, v[0:1], v[2:3] offset1:1
; %bb.6:                                ;   in Loop: Header=BB18_4 Depth=1
	s_or_b32 exec_lo, exec_lo, s6
	v_mov_b64_e32 v[8:9], 0
	v_mov_b64_e32 v[12:13], 0
	s_mov_b32 s6, exec_lo
	s_wait_dscnt 0x0
	s_barrier_signal -1
	s_barrier_wait -1
	v_cmpx_lt_u64_e64 s[4:5], v[4:5]
	s_cbranch_execz .LBB18_3
; %bb.7:                                ;   in Loop: Header=BB18_4 Depth=1
	global_load_b128 v[16:19], v[10:11], off offset:-8
	ds_load_2addr_b64 v[20:23], v14 offset1:1
	s_wait_loadcnt_dscnt 0x0
	v_mul_f64_e32 v[12:13], v[22:23], v[18:19]
	v_mul_f64_e32 v[8:9], v[20:21], v[18:19]
	s_delay_alu instid0(VALU_DEP_2) | instskip(NEXT) | instid1(VALU_DEP_2)
	v_fma_f64 v[12:13], v[20:21], v[16:17], -v[12:13]
	v_fmac_f64_e32 v[8:9], v[22:23], v[16:17]
	s_branch .LBB18_3
.LBB18_8:
	s_wait_loadcnt 0x0
	global_store_b128 v[6:7], v[0:3], off
.LBB18_9:
	s_endpgm
	.section	.rodata,"a",@progbits
	.p2align	6, 0x0
	.amdhsa_kernel _ZN9rocsolver6v33100L32unit_forward_substitution_kernelI19rocblas_complex_numIdElPS3_EEvT0_S5_T1_S5_S5_llS6_S5_S5_ll
		.amdhsa_group_segment_fixed_size 0
		.amdhsa_private_segment_fixed_size 0
		.amdhsa_kernarg_size 352
		.amdhsa_user_sgpr_count 2
		.amdhsa_user_sgpr_dispatch_ptr 0
		.amdhsa_user_sgpr_queue_ptr 0
		.amdhsa_user_sgpr_kernarg_segment_ptr 1
		.amdhsa_user_sgpr_dispatch_id 0
		.amdhsa_user_sgpr_kernarg_preload_length 0
		.amdhsa_user_sgpr_kernarg_preload_offset 0
		.amdhsa_user_sgpr_private_segment_size 0
		.amdhsa_wavefront_size32 1
		.amdhsa_uses_dynamic_stack 0
		.amdhsa_enable_private_segment 0
		.amdhsa_system_sgpr_workgroup_id_x 1
		.amdhsa_system_sgpr_workgroup_id_y 1
		.amdhsa_system_sgpr_workgroup_id_z 1
		.amdhsa_system_sgpr_workgroup_info 0
		.amdhsa_system_vgpr_workitem_id 1
		.amdhsa_next_free_vgpr 24
		.amdhsa_next_free_sgpr 28
		.amdhsa_named_barrier_count 0
		.amdhsa_reserve_vcc 1
		.amdhsa_float_round_mode_32 0
		.amdhsa_float_round_mode_16_64 0
		.amdhsa_float_denorm_mode_32 3
		.amdhsa_float_denorm_mode_16_64 3
		.amdhsa_fp16_overflow 0
		.amdhsa_memory_ordered 1
		.amdhsa_forward_progress 1
		.amdhsa_inst_pref_size 5
		.amdhsa_round_robin_scheduling 0
		.amdhsa_exception_fp_ieee_invalid_op 0
		.amdhsa_exception_fp_denorm_src 0
		.amdhsa_exception_fp_ieee_div_zero 0
		.amdhsa_exception_fp_ieee_overflow 0
		.amdhsa_exception_fp_ieee_underflow 0
		.amdhsa_exception_fp_ieee_inexact 0
		.amdhsa_exception_int_div_zero 0
	.end_amdhsa_kernel
	.section	.text._ZN9rocsolver6v33100L32unit_forward_substitution_kernelI19rocblas_complex_numIdElPS3_EEvT0_S5_T1_S5_S5_llS6_S5_S5_ll,"axG",@progbits,_ZN9rocsolver6v33100L32unit_forward_substitution_kernelI19rocblas_complex_numIdElPS3_EEvT0_S5_T1_S5_S5_llS6_S5_S5_ll,comdat
.Lfunc_end18:
	.size	_ZN9rocsolver6v33100L32unit_forward_substitution_kernelI19rocblas_complex_numIdElPS3_EEvT0_S5_T1_S5_S5_llS6_S5_S5_ll, .Lfunc_end18-_ZN9rocsolver6v33100L32unit_forward_substitution_kernelI19rocblas_complex_numIdElPS3_EEvT0_S5_T1_S5_S5_llS6_S5_S5_ll
                                        ; -- End function
	.set _ZN9rocsolver6v33100L32unit_forward_substitution_kernelI19rocblas_complex_numIdElPS3_EEvT0_S5_T1_S5_S5_llS6_S5_S5_ll.num_vgpr, 24
	.set _ZN9rocsolver6v33100L32unit_forward_substitution_kernelI19rocblas_complex_numIdElPS3_EEvT0_S5_T1_S5_S5_llS6_S5_S5_ll.num_agpr, 0
	.set _ZN9rocsolver6v33100L32unit_forward_substitution_kernelI19rocblas_complex_numIdElPS3_EEvT0_S5_T1_S5_S5_llS6_S5_S5_ll.numbered_sgpr, 28
	.set _ZN9rocsolver6v33100L32unit_forward_substitution_kernelI19rocblas_complex_numIdElPS3_EEvT0_S5_T1_S5_S5_llS6_S5_S5_ll.num_named_barrier, 0
	.set _ZN9rocsolver6v33100L32unit_forward_substitution_kernelI19rocblas_complex_numIdElPS3_EEvT0_S5_T1_S5_S5_llS6_S5_S5_ll.private_seg_size, 0
	.set _ZN9rocsolver6v33100L32unit_forward_substitution_kernelI19rocblas_complex_numIdElPS3_EEvT0_S5_T1_S5_S5_llS6_S5_S5_ll.uses_vcc, 1
	.set _ZN9rocsolver6v33100L32unit_forward_substitution_kernelI19rocblas_complex_numIdElPS3_EEvT0_S5_T1_S5_S5_llS6_S5_S5_ll.uses_flat_scratch, 0
	.set _ZN9rocsolver6v33100L32unit_forward_substitution_kernelI19rocblas_complex_numIdElPS3_EEvT0_S5_T1_S5_S5_llS6_S5_S5_ll.has_dyn_sized_stack, 0
	.set _ZN9rocsolver6v33100L32unit_forward_substitution_kernelI19rocblas_complex_numIdElPS3_EEvT0_S5_T1_S5_S5_llS6_S5_S5_ll.has_recursion, 0
	.set _ZN9rocsolver6v33100L32unit_forward_substitution_kernelI19rocblas_complex_numIdElPS3_EEvT0_S5_T1_S5_S5_llS6_S5_S5_ll.has_indirect_call, 0
	.section	.AMDGPU.csdata,"",@progbits
; Kernel info:
; codeLenInByte = 524
; TotalNumSgprs: 30
; NumVgprs: 24
; ScratchSize: 0
; MemoryBound: 0
; FloatMode: 240
; IeeeMode: 1
; LDSByteSize: 0 bytes/workgroup (compile time only)
; SGPRBlocks: 0
; VGPRBlocks: 1
; NumSGPRsForWavesPerEU: 30
; NumVGPRsForWavesPerEU: 24
; NamedBarCnt: 0
; Occupancy: 16
; WaveLimiterHint : 0
; COMPUTE_PGM_RSRC2:SCRATCH_EN: 0
; COMPUTE_PGM_RSRC2:USER_SGPR: 2
; COMPUTE_PGM_RSRC2:TRAP_HANDLER: 0
; COMPUTE_PGM_RSRC2:TGID_X_EN: 1
; COMPUTE_PGM_RSRC2:TGID_Y_EN: 1
; COMPUTE_PGM_RSRC2:TGID_Z_EN: 1
; COMPUTE_PGM_RSRC2:TIDIG_COMP_CNT: 1
	.section	.text._ZN9rocsolver6v33100L35nonunit_forward_substitution_kernelI19rocblas_complex_numIdElPS3_EEvT0_S5_T1_S5_S5_llS6_S5_S5_ll,"axG",@progbits,_ZN9rocsolver6v33100L35nonunit_forward_substitution_kernelI19rocblas_complex_numIdElPS3_EEvT0_S5_T1_S5_S5_llS6_S5_S5_ll,comdat
	.globl	_ZN9rocsolver6v33100L35nonunit_forward_substitution_kernelI19rocblas_complex_numIdElPS3_EEvT0_S5_T1_S5_S5_llS6_S5_S5_ll ; -- Begin function _ZN9rocsolver6v33100L35nonunit_forward_substitution_kernelI19rocblas_complex_numIdElPS3_EEvT0_S5_T1_S5_S5_llS6_S5_S5_ll
	.p2align	8
	.type	_ZN9rocsolver6v33100L35nonunit_forward_substitution_kernelI19rocblas_complex_numIdElPS3_EEvT0_S5_T1_S5_S5_llS6_S5_S5_ll,@function
_ZN9rocsolver6v33100L35nonunit_forward_substitution_kernelI19rocblas_complex_numIdElPS3_EEvT0_S5_T1_S5_S5_llS6_S5_S5_ll: ; @_ZN9rocsolver6v33100L35nonunit_forward_substitution_kernelI19rocblas_complex_numIdElPS3_EEvT0_S5_T1_S5_S5_llS6_S5_S5_ll
; %bb.0:
	s_clause 0x1
	s_load_u16 s3, s[0:1], 0x6e
	s_load_b512 s[4:19], s[0:1], 0x0
	s_bfe_u32 s2, ttmp6, 0x40010
	v_mov_b32_e32 v11, 0
	s_and_b32 s20, ttmp7, 0xffff
	s_add_co_i32 s2, s2, 1
	s_bfe_u32 s22, ttmp6, 0x40004
	s_mul_i32 s21, s20, s2
	s_getreg_b32 s2, hwreg(HW_REG_IB_STS2, 6, 4)
	v_bfe_u32 v4, v0, 10, 10
	v_mov_b32_e32 v5, v11
	s_add_co_i32 s22, s22, s21
	s_cmp_eq_u32 s2, 0
	s_cselect_b32 s20, s20, s22
	s_wait_kmcnt 0x0
	v_mad_nc_u64_u32 v[2:3], s3, s20, v[4:5]
	s_mov_b32 s3, 0
	s_delay_alu instid0(VALU_DEP_1)
	v_cmp_gt_i64_e32 vcc_lo, s[6:7], v[2:3]
	s_and_saveexec_b32 s6, vcc_lo
	s_cbranch_execz .LBB19_19
; %bb.1:
	s_load_b256 s[20:27], s[0:1], 0x40
	v_and_b32_e32 v10, 0x3ff, v0
	s_wait_xcnt 0x0
	s_bfe_u32 s0, ttmp6, 0x40014
	s_lshr_b32 s1, ttmp7, 16
	s_add_co_i32 s0, s0, 1
	s_bfe_u32 s6, ttmp6, 0x40008
	s_mul_i32 s0, s1, s0
	s_delay_alu instid0(SALU_CYCLE_1)
	s_add_co_i32 s6, s6, s0
	s_cmp_eq_u32 s2, 0
	s_cselect_b32 s2, s1, s6
	s_lshl_b64 s[14:15], s[14:15], 4
	s_wait_kmcnt 0x0
	v_mul_u64_e32 v[0:1], s[20:21], v[10:11]
	v_mul_u64_e32 v[2:3], s[22:23], v[2:3]
	s_mul_u64 s[0:1], s[26:27], s[2:3]
	s_lshl_b64 s[6:7], s[24:25], 4
	s_lshl_b64 s[0:1], s[0:1], 4
	s_delay_alu instid0(SALU_CYCLE_1) | instskip(NEXT) | instid1(SALU_CYCLE_1)
	s_add_nc_u64 s[0:1], s[18:19], s[0:1]
	s_add_nc_u64 s[0:1], s[0:1], s[6:7]
	s_delay_alu instid0(VALU_DEP_2) | instid1(SALU_CYCLE_1)
	v_lshl_add_u64 v[0:1], v[0:1], 4, s[0:1]
	s_add_nc_u64 s[0:1], s[12:13], s[10:11]
	s_delay_alu instid0(SALU_CYCLE_1) | instskip(SKIP_1) | instid1(VALU_DEP_2)
	v_mul_u64_e32 v[12:13], s[0:1], v[10:11]
	s_mul_u64 s[0:1], s[16:17], s[2:3]
	v_lshl_add_u64 v[8:9], v[2:3], 4, v[0:1]
	v_cmp_lt_i64_e64 s2, s[4:5], 2
	s_lshl_b64 s[6:7], s[0:1], 4
	s_delay_alu instid0(SALU_CYCLE_1)
	s_add_nc_u64 s[0:1], s[8:9], s[6:7]
	global_load_b128 v[0:3], v[8:9], off
	s_add_nc_u64 s[0:1], s[0:1], s[14:15]
	s_and_b32 vcc_lo, exec_lo, s2
	s_add_nc_u64 s[2:3], s[4:5], -1
	s_cbranch_vccnz .LBB19_12
; %bb.2:
	v_mul_u64_e32 v[6:7], s[10:11], v[10:11]
	s_add_nc_u64 s[4:5], s[8:9], s[14:15]
	v_lshl_add_u64 v[16:17], v[12:13], 4, s[0:1]
	s_add_nc_u64 s[4:5], s[4:5], s[6:7]
	v_lshl_add_u32 v18, v4, 4, 0
	s_mov_b64 s[6:7], 0
	s_delay_alu instid0(VALU_DEP_3) | instskip(SKIP_1) | instid1(VALU_DEP_1)
	v_lshl_add_u64 v[6:7], v[6:7], 4, s[4:5]
	s_lshl_b64 s[4:5], s[12:13], 4
	v_add_nc_u64_e32 v[14:15], 8, v[6:7]
	s_branch .LBB19_4
.LBB19_3:                               ;   in Loop: Header=BB19_4 Depth=1
	s_or_b32 exec_lo, exec_lo, s8
	s_delay_alu instid0(VALU_DEP_2) | instskip(NEXT) | instid1(VALU_DEP_2)
	v_add_f64_e64 v[0:1], v[0:1], -v[6:7]
	v_add_f64_e64 v[2:3], v[2:3], -v[4:5]
	v_add_nc_u64_e32 v[14:15], s[4:5], v[14:15]
	s_add_nc_u64 s[6:7], s[6:7], 1
	s_delay_alu instid0(SALU_CYCLE_1)
	s_cmp_eq_u64 s[2:3], s[6:7]
	s_cbranch_scc1 .LBB19_12
.LBB19_4:                               ; =>This Inner Loop Header: Depth=1
	s_mov_b32 s8, exec_lo
	s_wait_loadcnt 0x0
	s_barrier_signal -1
	s_barrier_wait -1
	s_wait_xcnt 0x0
	v_cmpx_eq_u64_e64 s[6:7], v[10:11]
	s_cbranch_execz .LBB19_10
; %bb.5:                                ;   in Loop: Header=BB19_4 Depth=1
	global_load_b128 v[4:7], v[16:17], off
	s_wait_loadcnt 0x0
	v_cmp_ngt_f64_e64 s9, |v[4:5]|, |v[6:7]|
	s_and_saveexec_b32 s10, s9
	s_delay_alu instid0(SALU_CYCLE_1)
	s_xor_b32 s9, exec_lo, s10
	s_cbranch_execz .LBB19_7
; %bb.6:                                ;   in Loop: Header=BB19_4 Depth=1
	v_div_scale_f64 v[20:21], null, v[6:7], v[6:7], v[4:5]
	v_div_scale_f64 v[26:27], vcc_lo, v[4:5], v[6:7], v[4:5]
	s_delay_alu instid0(VALU_DEP_2) | instskip(SKIP_1) | instid1(TRANS32_DEP_1)
	v_rcp_f64_e32 v[22:23], v[20:21]
	v_nop
	v_fma_f64 v[24:25], -v[20:21], v[22:23], 1.0
	s_delay_alu instid0(VALU_DEP_1) | instskip(NEXT) | instid1(VALU_DEP_1)
	v_fmac_f64_e32 v[22:23], v[22:23], v[24:25]
	v_fma_f64 v[24:25], -v[20:21], v[22:23], 1.0
	s_delay_alu instid0(VALU_DEP_1) | instskip(NEXT) | instid1(VALU_DEP_1)
	v_fmac_f64_e32 v[22:23], v[22:23], v[24:25]
	v_mul_f64_e32 v[24:25], v[26:27], v[22:23]
	s_delay_alu instid0(VALU_DEP_1) | instskip(NEXT) | instid1(VALU_DEP_1)
	v_fma_f64 v[20:21], -v[20:21], v[24:25], v[26:27]
	v_div_fmas_f64 v[20:21], v[20:21], v[22:23], v[24:25]
	s_delay_alu instid0(VALU_DEP_1) | instskip(NEXT) | instid1(VALU_DEP_1)
	v_div_fixup_f64 v[20:21], v[20:21], v[6:7], v[4:5]
	v_fmac_f64_e32 v[6:7], v[4:5], v[20:21]
	s_delay_alu instid0(VALU_DEP_1) | instskip(SKIP_1) | instid1(VALU_DEP_2)
	v_div_scale_f64 v[4:5], null, v[6:7], v[6:7], 1.0
	v_div_scale_f64 v[26:27], vcc_lo, 1.0, v[6:7], 1.0
	v_rcp_f64_e32 v[22:23], v[4:5]
	v_nop
	s_delay_alu instid0(TRANS32_DEP_1) | instskip(NEXT) | instid1(VALU_DEP_1)
	v_fma_f64 v[24:25], -v[4:5], v[22:23], 1.0
	v_fmac_f64_e32 v[22:23], v[22:23], v[24:25]
	s_delay_alu instid0(VALU_DEP_1) | instskip(NEXT) | instid1(VALU_DEP_1)
	v_fma_f64 v[24:25], -v[4:5], v[22:23], 1.0
	v_fmac_f64_e32 v[22:23], v[22:23], v[24:25]
	s_delay_alu instid0(VALU_DEP_1) | instskip(NEXT) | instid1(VALU_DEP_1)
	v_mul_f64_e32 v[24:25], v[26:27], v[22:23]
	v_fma_f64 v[4:5], -v[4:5], v[24:25], v[26:27]
	s_delay_alu instid0(VALU_DEP_1) | instskip(NEXT) | instid1(VALU_DEP_1)
	v_div_fmas_f64 v[4:5], v[4:5], v[22:23], v[24:25]
	v_div_fixup_f64 v[4:5], v[4:5], v[6:7], 1.0
	v_fma_f64 v[6:7], v[0:1], v[20:21], v[2:3]
	v_fma_f64 v[0:1], v[2:3], v[20:21], -v[0:1]
	s_delay_alu instid0(VALU_DEP_2) | instskip(NEXT) | instid1(VALU_DEP_2)
	v_mul_f64_e32 v[6:7], v[6:7], v[4:5]
	v_mul_f64_e32 v[2:3], v[0:1], v[4:5]
	s_delay_alu instid0(VALU_DEP_2)
	v_mov_b64_e32 v[0:1], v[6:7]
                                        ; implicit-def: $vgpr4_vgpr5
.LBB19_7:                               ;   in Loop: Header=BB19_4 Depth=1
	s_and_not1_saveexec_b32 s9, s9
	s_cbranch_execz .LBB19_9
; %bb.8:                                ;   in Loop: Header=BB19_4 Depth=1
	v_div_scale_f64 v[20:21], null, v[4:5], v[4:5], v[6:7]
	v_div_scale_f64 v[26:27], vcc_lo, v[6:7], v[4:5], v[6:7]
	s_delay_alu instid0(VALU_DEP_2) | instskip(SKIP_1) | instid1(TRANS32_DEP_1)
	v_rcp_f64_e32 v[22:23], v[20:21]
	v_nop
	v_fma_f64 v[24:25], -v[20:21], v[22:23], 1.0
	s_delay_alu instid0(VALU_DEP_1) | instskip(NEXT) | instid1(VALU_DEP_1)
	v_fmac_f64_e32 v[22:23], v[22:23], v[24:25]
	v_fma_f64 v[24:25], -v[20:21], v[22:23], 1.0
	s_delay_alu instid0(VALU_DEP_1) | instskip(NEXT) | instid1(VALU_DEP_1)
	v_fmac_f64_e32 v[22:23], v[22:23], v[24:25]
	v_mul_f64_e32 v[24:25], v[26:27], v[22:23]
	s_delay_alu instid0(VALU_DEP_1) | instskip(NEXT) | instid1(VALU_DEP_1)
	v_fma_f64 v[20:21], -v[20:21], v[24:25], v[26:27]
	v_div_fmas_f64 v[20:21], v[20:21], v[22:23], v[24:25]
	s_delay_alu instid0(VALU_DEP_1) | instskip(NEXT) | instid1(VALU_DEP_1)
	v_div_fixup_f64 v[20:21], v[20:21], v[4:5], v[6:7]
	v_fmac_f64_e32 v[4:5], v[6:7], v[20:21]
	s_delay_alu instid0(VALU_DEP_1) | instskip(SKIP_1) | instid1(VALU_DEP_2)
	v_div_scale_f64 v[6:7], null, v[4:5], v[4:5], 1.0
	v_div_scale_f64 v[26:27], vcc_lo, 1.0, v[4:5], 1.0
	v_rcp_f64_e32 v[22:23], v[6:7]
	v_nop
	s_delay_alu instid0(TRANS32_DEP_1) | instskip(NEXT) | instid1(VALU_DEP_1)
	v_fma_f64 v[24:25], -v[6:7], v[22:23], 1.0
	v_fmac_f64_e32 v[22:23], v[22:23], v[24:25]
	s_delay_alu instid0(VALU_DEP_1) | instskip(NEXT) | instid1(VALU_DEP_1)
	v_fma_f64 v[24:25], -v[6:7], v[22:23], 1.0
	v_fmac_f64_e32 v[22:23], v[22:23], v[24:25]
	s_delay_alu instid0(VALU_DEP_1) | instskip(NEXT) | instid1(VALU_DEP_1)
	v_mul_f64_e32 v[24:25], v[26:27], v[22:23]
	v_fma_f64 v[6:7], -v[6:7], v[24:25], v[26:27]
	s_delay_alu instid0(VALU_DEP_1) | instskip(NEXT) | instid1(VALU_DEP_1)
	v_div_fmas_f64 v[6:7], v[6:7], v[22:23], v[24:25]
	v_div_fixup_f64 v[4:5], v[6:7], v[4:5], 1.0
	v_fma_f64 v[6:7], v[2:3], v[20:21], v[0:1]
	v_fma_f64 v[0:1], -v[0:1], v[20:21], v[2:3]
	s_delay_alu instid0(VALU_DEP_2) | instskip(NEXT) | instid1(VALU_DEP_2)
	v_mul_f64_e32 v[6:7], v[6:7], v[4:5]
	v_mul_f64_e32 v[2:3], v[0:1], v[4:5]
	s_delay_alu instid0(VALU_DEP_2)
	v_mov_b64_e32 v[0:1], v[6:7]
.LBB19_9:                               ;   in Loop: Header=BB19_4 Depth=1
	s_or_b32 exec_lo, exec_lo, s9
	ds_store_2addr_b64 v18, v[0:1], v[2:3] offset1:1
.LBB19_10:                              ;   in Loop: Header=BB19_4 Depth=1
	s_or_b32 exec_lo, exec_lo, s8
	v_mov_b64_e32 v[4:5], 0
	v_mov_b64_e32 v[6:7], 0
	s_mov_b32 s8, exec_lo
	s_wait_dscnt 0x0
	s_barrier_signal -1
	s_barrier_wait -1
	v_cmpx_lt_u64_e64 s[6:7], v[10:11]
	s_cbranch_execz .LBB19_3
; %bb.11:                               ;   in Loop: Header=BB19_4 Depth=1
	global_load_b128 v[20:23], v[14:15], off offset:-8
	ds_load_2addr_b64 v[24:27], v18 offset1:1
	s_wait_loadcnt_dscnt 0x0
	v_mul_f64_e32 v[6:7], v[26:27], v[22:23]
	v_mul_f64_e32 v[4:5], v[24:25], v[22:23]
	s_delay_alu instid0(VALU_DEP_2) | instskip(NEXT) | instid1(VALU_DEP_2)
	v_fma_f64 v[6:7], v[24:25], v[20:21], -v[6:7]
	v_fmac_f64_e32 v[4:5], v[26:27], v[20:21]
	s_branch .LBB19_3
.LBB19_12:
	v_cmp_eq_u64_e32 vcc_lo, s[2:3], v[10:11]
	s_wait_xcnt 0x0
	s_and_saveexec_b32 s2, vcc_lo
	s_cbranch_execz .LBB19_18
; %bb.13:
	v_lshl_add_u64 v[4:5], v[12:13], 4, s[0:1]
	global_load_b128 v[4:7], v[4:5], off
	s_wait_loadcnt 0x0
	v_cmp_ngt_f64_e64 s0, |v[4:5]|, |v[6:7]|
	s_and_saveexec_b32 s1, s0
	s_delay_alu instid0(SALU_CYCLE_1)
	s_xor_b32 s0, exec_lo, s1
	s_cbranch_execz .LBB19_15
; %bb.14:
	v_div_scale_f64 v[10:11], null, v[6:7], v[6:7], v[4:5]
	v_div_scale_f64 v[16:17], vcc_lo, v[4:5], v[6:7], v[4:5]
	s_delay_alu instid0(VALU_DEP_2) | instskip(SKIP_1) | instid1(TRANS32_DEP_1)
	v_rcp_f64_e32 v[12:13], v[10:11]
	v_nop
	v_fma_f64 v[14:15], -v[10:11], v[12:13], 1.0
	s_delay_alu instid0(VALU_DEP_1) | instskip(NEXT) | instid1(VALU_DEP_1)
	v_fmac_f64_e32 v[12:13], v[12:13], v[14:15]
	v_fma_f64 v[14:15], -v[10:11], v[12:13], 1.0
	s_delay_alu instid0(VALU_DEP_1) | instskip(NEXT) | instid1(VALU_DEP_1)
	v_fmac_f64_e32 v[12:13], v[12:13], v[14:15]
	v_mul_f64_e32 v[14:15], v[16:17], v[12:13]
	s_delay_alu instid0(VALU_DEP_1) | instskip(NEXT) | instid1(VALU_DEP_1)
	v_fma_f64 v[10:11], -v[10:11], v[14:15], v[16:17]
	v_div_fmas_f64 v[10:11], v[10:11], v[12:13], v[14:15]
	s_delay_alu instid0(VALU_DEP_1) | instskip(NEXT) | instid1(VALU_DEP_1)
	v_div_fixup_f64 v[10:11], v[10:11], v[6:7], v[4:5]
	v_fmac_f64_e32 v[6:7], v[4:5], v[10:11]
	s_delay_alu instid0(VALU_DEP_1) | instskip(SKIP_1) | instid1(VALU_DEP_2)
	v_div_scale_f64 v[4:5], null, v[6:7], v[6:7], 1.0
	v_div_scale_f64 v[16:17], vcc_lo, 1.0, v[6:7], 1.0
	v_rcp_f64_e32 v[12:13], v[4:5]
	v_nop
	s_delay_alu instid0(TRANS32_DEP_1) | instskip(NEXT) | instid1(VALU_DEP_1)
	v_fma_f64 v[14:15], -v[4:5], v[12:13], 1.0
	v_fmac_f64_e32 v[12:13], v[12:13], v[14:15]
	s_delay_alu instid0(VALU_DEP_1) | instskip(NEXT) | instid1(VALU_DEP_1)
	v_fma_f64 v[14:15], -v[4:5], v[12:13], 1.0
	v_fmac_f64_e32 v[12:13], v[12:13], v[14:15]
	s_delay_alu instid0(VALU_DEP_1) | instskip(NEXT) | instid1(VALU_DEP_1)
	v_mul_f64_e32 v[14:15], v[16:17], v[12:13]
	v_fma_f64 v[4:5], -v[4:5], v[14:15], v[16:17]
	s_delay_alu instid0(VALU_DEP_1) | instskip(NEXT) | instid1(VALU_DEP_1)
	v_div_fmas_f64 v[4:5], v[4:5], v[12:13], v[14:15]
	v_div_fixup_f64 v[4:5], v[4:5], v[6:7], 1.0
	v_fma_f64 v[6:7], v[0:1], v[10:11], v[2:3]
	v_fma_f64 v[0:1], v[2:3], v[10:11], -v[0:1]
	s_delay_alu instid0(VALU_DEP_2) | instskip(NEXT) | instid1(VALU_DEP_2)
	v_mul_f64_e32 v[6:7], v[6:7], v[4:5]
	v_mul_f64_e32 v[2:3], v[0:1], v[4:5]
	s_delay_alu instid0(VALU_DEP_2)
	v_mov_b64_e32 v[0:1], v[6:7]
                                        ; implicit-def: $vgpr4_vgpr5
.LBB19_15:
	s_and_not1_saveexec_b32 s0, s0
	s_cbranch_execz .LBB19_17
; %bb.16:
	v_div_scale_f64 v[10:11], null, v[4:5], v[4:5], v[6:7]
	v_div_scale_f64 v[16:17], vcc_lo, v[6:7], v[4:5], v[6:7]
	s_delay_alu instid0(VALU_DEP_2) | instskip(SKIP_1) | instid1(TRANS32_DEP_1)
	v_rcp_f64_e32 v[12:13], v[10:11]
	v_nop
	v_fma_f64 v[14:15], -v[10:11], v[12:13], 1.0
	s_delay_alu instid0(VALU_DEP_1) | instskip(NEXT) | instid1(VALU_DEP_1)
	v_fmac_f64_e32 v[12:13], v[12:13], v[14:15]
	v_fma_f64 v[14:15], -v[10:11], v[12:13], 1.0
	s_delay_alu instid0(VALU_DEP_1) | instskip(NEXT) | instid1(VALU_DEP_1)
	v_fmac_f64_e32 v[12:13], v[12:13], v[14:15]
	v_mul_f64_e32 v[14:15], v[16:17], v[12:13]
	s_delay_alu instid0(VALU_DEP_1) | instskip(NEXT) | instid1(VALU_DEP_1)
	v_fma_f64 v[10:11], -v[10:11], v[14:15], v[16:17]
	v_div_fmas_f64 v[10:11], v[10:11], v[12:13], v[14:15]
	s_delay_alu instid0(VALU_DEP_1) | instskip(NEXT) | instid1(VALU_DEP_1)
	v_div_fixup_f64 v[10:11], v[10:11], v[4:5], v[6:7]
	v_fmac_f64_e32 v[4:5], v[6:7], v[10:11]
	s_delay_alu instid0(VALU_DEP_1) | instskip(SKIP_1) | instid1(VALU_DEP_2)
	v_div_scale_f64 v[6:7], null, v[4:5], v[4:5], 1.0
	v_div_scale_f64 v[16:17], vcc_lo, 1.0, v[4:5], 1.0
	v_rcp_f64_e32 v[12:13], v[6:7]
	v_nop
	s_delay_alu instid0(TRANS32_DEP_1) | instskip(NEXT) | instid1(VALU_DEP_1)
	v_fma_f64 v[14:15], -v[6:7], v[12:13], 1.0
	v_fmac_f64_e32 v[12:13], v[12:13], v[14:15]
	s_delay_alu instid0(VALU_DEP_1) | instskip(NEXT) | instid1(VALU_DEP_1)
	v_fma_f64 v[14:15], -v[6:7], v[12:13], 1.0
	v_fmac_f64_e32 v[12:13], v[12:13], v[14:15]
	s_delay_alu instid0(VALU_DEP_1) | instskip(NEXT) | instid1(VALU_DEP_1)
	v_mul_f64_e32 v[14:15], v[16:17], v[12:13]
	v_fma_f64 v[6:7], -v[6:7], v[14:15], v[16:17]
	s_delay_alu instid0(VALU_DEP_1) | instskip(NEXT) | instid1(VALU_DEP_1)
	v_div_fmas_f64 v[6:7], v[6:7], v[12:13], v[14:15]
	v_div_fixup_f64 v[4:5], v[6:7], v[4:5], 1.0
	v_fma_f64 v[6:7], v[2:3], v[10:11], v[0:1]
	v_fma_f64 v[0:1], -v[0:1], v[10:11], v[2:3]
	s_delay_alu instid0(VALU_DEP_2) | instskip(NEXT) | instid1(VALU_DEP_2)
	v_mul_f64_e32 v[6:7], v[6:7], v[4:5]
	v_mul_f64_e32 v[2:3], v[0:1], v[4:5]
	s_delay_alu instid0(VALU_DEP_2)
	v_mov_b64_e32 v[0:1], v[6:7]
.LBB19_17:
	s_or_b32 exec_lo, exec_lo, s0
.LBB19_18:
	s_delay_alu instid0(SALU_CYCLE_1)
	s_or_b32 exec_lo, exec_lo, s2
	s_wait_loadcnt 0x0
	global_store_b128 v[8:9], v[0:3], off
.LBB19_19:
	s_endpgm
	.section	.rodata,"a",@progbits
	.p2align	6, 0x0
	.amdhsa_kernel _ZN9rocsolver6v33100L35nonunit_forward_substitution_kernelI19rocblas_complex_numIdElPS3_EEvT0_S5_T1_S5_S5_llS6_S5_S5_ll
		.amdhsa_group_segment_fixed_size 0
		.amdhsa_private_segment_fixed_size 0
		.amdhsa_kernarg_size 352
		.amdhsa_user_sgpr_count 2
		.amdhsa_user_sgpr_dispatch_ptr 0
		.amdhsa_user_sgpr_queue_ptr 0
		.amdhsa_user_sgpr_kernarg_segment_ptr 1
		.amdhsa_user_sgpr_dispatch_id 0
		.amdhsa_user_sgpr_kernarg_preload_length 0
		.amdhsa_user_sgpr_kernarg_preload_offset 0
		.amdhsa_user_sgpr_private_segment_size 0
		.amdhsa_wavefront_size32 1
		.amdhsa_uses_dynamic_stack 0
		.amdhsa_enable_private_segment 0
		.amdhsa_system_sgpr_workgroup_id_x 1
		.amdhsa_system_sgpr_workgroup_id_y 1
		.amdhsa_system_sgpr_workgroup_id_z 1
		.amdhsa_system_sgpr_workgroup_info 0
		.amdhsa_system_vgpr_workitem_id 1
		.amdhsa_next_free_vgpr 28
		.amdhsa_next_free_sgpr 28
		.amdhsa_named_barrier_count 0
		.amdhsa_reserve_vcc 1
		.amdhsa_float_round_mode_32 0
		.amdhsa_float_round_mode_16_64 0
		.amdhsa_float_denorm_mode_32 3
		.amdhsa_float_denorm_mode_16_64 3
		.amdhsa_fp16_overflow 0
		.amdhsa_memory_ordered 1
		.amdhsa_forward_progress 1
		.amdhsa_inst_pref_size 13
		.amdhsa_round_robin_scheduling 0
		.amdhsa_exception_fp_ieee_invalid_op 0
		.amdhsa_exception_fp_denorm_src 0
		.amdhsa_exception_fp_ieee_div_zero 0
		.amdhsa_exception_fp_ieee_overflow 0
		.amdhsa_exception_fp_ieee_underflow 0
		.amdhsa_exception_fp_ieee_inexact 0
		.amdhsa_exception_int_div_zero 0
	.end_amdhsa_kernel
	.section	.text._ZN9rocsolver6v33100L35nonunit_forward_substitution_kernelI19rocblas_complex_numIdElPS3_EEvT0_S5_T1_S5_S5_llS6_S5_S5_ll,"axG",@progbits,_ZN9rocsolver6v33100L35nonunit_forward_substitution_kernelI19rocblas_complex_numIdElPS3_EEvT0_S5_T1_S5_S5_llS6_S5_S5_ll,comdat
.Lfunc_end19:
	.size	_ZN9rocsolver6v33100L35nonunit_forward_substitution_kernelI19rocblas_complex_numIdElPS3_EEvT0_S5_T1_S5_S5_llS6_S5_S5_ll, .Lfunc_end19-_ZN9rocsolver6v33100L35nonunit_forward_substitution_kernelI19rocblas_complex_numIdElPS3_EEvT0_S5_T1_S5_S5_llS6_S5_S5_ll
                                        ; -- End function
	.set _ZN9rocsolver6v33100L35nonunit_forward_substitution_kernelI19rocblas_complex_numIdElPS3_EEvT0_S5_T1_S5_S5_llS6_S5_S5_ll.num_vgpr, 28
	.set _ZN9rocsolver6v33100L35nonunit_forward_substitution_kernelI19rocblas_complex_numIdElPS3_EEvT0_S5_T1_S5_S5_llS6_S5_S5_ll.num_agpr, 0
	.set _ZN9rocsolver6v33100L35nonunit_forward_substitution_kernelI19rocblas_complex_numIdElPS3_EEvT0_S5_T1_S5_S5_llS6_S5_S5_ll.numbered_sgpr, 28
	.set _ZN9rocsolver6v33100L35nonunit_forward_substitution_kernelI19rocblas_complex_numIdElPS3_EEvT0_S5_T1_S5_S5_llS6_S5_S5_ll.num_named_barrier, 0
	.set _ZN9rocsolver6v33100L35nonunit_forward_substitution_kernelI19rocblas_complex_numIdElPS3_EEvT0_S5_T1_S5_S5_llS6_S5_S5_ll.private_seg_size, 0
	.set _ZN9rocsolver6v33100L35nonunit_forward_substitution_kernelI19rocblas_complex_numIdElPS3_EEvT0_S5_T1_S5_S5_llS6_S5_S5_ll.uses_vcc, 1
	.set _ZN9rocsolver6v33100L35nonunit_forward_substitution_kernelI19rocblas_complex_numIdElPS3_EEvT0_S5_T1_S5_S5_llS6_S5_S5_ll.uses_flat_scratch, 0
	.set _ZN9rocsolver6v33100L35nonunit_forward_substitution_kernelI19rocblas_complex_numIdElPS3_EEvT0_S5_T1_S5_S5_llS6_S5_S5_ll.has_dyn_sized_stack, 0
	.set _ZN9rocsolver6v33100L35nonunit_forward_substitution_kernelI19rocblas_complex_numIdElPS3_EEvT0_S5_T1_S5_S5_llS6_S5_S5_ll.has_recursion, 0
	.set _ZN9rocsolver6v33100L35nonunit_forward_substitution_kernelI19rocblas_complex_numIdElPS3_EEvT0_S5_T1_S5_S5_llS6_S5_S5_ll.has_indirect_call, 0
	.section	.AMDGPU.csdata,"",@progbits
; Kernel info:
; codeLenInByte = 1620
; TotalNumSgprs: 30
; NumVgprs: 28
; ScratchSize: 0
; MemoryBound: 0
; FloatMode: 240
; IeeeMode: 1
; LDSByteSize: 0 bytes/workgroup (compile time only)
; SGPRBlocks: 0
; VGPRBlocks: 1
; NumSGPRsForWavesPerEU: 30
; NumVGPRsForWavesPerEU: 28
; NamedBarCnt: 0
; Occupancy: 16
; WaveLimiterHint : 0
; COMPUTE_PGM_RSRC2:SCRATCH_EN: 0
; COMPUTE_PGM_RSRC2:USER_SGPR: 2
; COMPUTE_PGM_RSRC2:TRAP_HANDLER: 0
; COMPUTE_PGM_RSRC2:TGID_X_EN: 1
; COMPUTE_PGM_RSRC2:TGID_Y_EN: 1
; COMPUTE_PGM_RSRC2:TGID_Z_EN: 1
; COMPUTE_PGM_RSRC2:TIDIG_COMP_CNT: 1
	.section	.text._ZN9rocsolver6v33100L38conj_unit_backward_substitution_kernelI19rocblas_complex_numIdElPS3_EEvT0_S5_T1_S5_S5_llS6_S5_S5_ll,"axG",@progbits,_ZN9rocsolver6v33100L38conj_unit_backward_substitution_kernelI19rocblas_complex_numIdElPS3_EEvT0_S5_T1_S5_S5_llS6_S5_S5_ll,comdat
	.globl	_ZN9rocsolver6v33100L38conj_unit_backward_substitution_kernelI19rocblas_complex_numIdElPS3_EEvT0_S5_T1_S5_S5_llS6_S5_S5_ll ; -- Begin function _ZN9rocsolver6v33100L38conj_unit_backward_substitution_kernelI19rocblas_complex_numIdElPS3_EEvT0_S5_T1_S5_S5_llS6_S5_S5_ll
	.p2align	8
	.type	_ZN9rocsolver6v33100L38conj_unit_backward_substitution_kernelI19rocblas_complex_numIdElPS3_EEvT0_S5_T1_S5_S5_llS6_S5_S5_ll,@function
_ZN9rocsolver6v33100L38conj_unit_backward_substitution_kernelI19rocblas_complex_numIdElPS3_EEvT0_S5_T1_S5_S5_llS6_S5_S5_ll: ; @_ZN9rocsolver6v33100L38conj_unit_backward_substitution_kernelI19rocblas_complex_numIdElPS3_EEvT0_S5_T1_S5_S5_llS6_S5_S5_ll
; %bb.0:
	s_clause 0x1
	s_load_u16 s3, s[0:1], 0x6e
	s_load_b512 s[4:19], s[0:1], 0x0
	s_bfe_u32 s2, ttmp6, 0x40010
	v_mov_b32_e32 v5, 0
	s_and_b32 s20, ttmp7, 0xffff
	s_add_co_i32 s2, s2, 1
	s_bfe_u32 s22, ttmp6, 0x40004
	s_mul_i32 s21, s20, s2
	s_getreg_b32 s2, hwreg(HW_REG_IB_STS2, 6, 4)
	v_bfe_u32 v8, v0, 10, 10
	v_mov_b32_e32 v9, v5
	s_add_co_i32 s22, s22, s21
	s_cmp_eq_u32 s2, 0
	s_cselect_b32 s20, s20, s22
	s_wait_kmcnt 0x0
	v_mad_nc_u64_u32 v[2:3], s3, s20, v[8:9]
	s_mov_b32 s3, 0
	s_delay_alu instid0(VALU_DEP_1)
	v_cmp_gt_i64_e32 vcc_lo, s[6:7], v[2:3]
	s_and_saveexec_b32 s6, vcc_lo
	s_cbranch_execz .LBB20_9
; %bb.1:
	s_load_b256 s[20:27], s[0:1], 0x40
	v_and_b32_e32 v4, 0x3ff, v0
	s_wait_xcnt 0x0
	s_bfe_u32 s0, ttmp6, 0x40014
	s_lshr_b32 s1, ttmp7, 16
	s_add_co_i32 s0, s0, 1
	s_bfe_u32 s6, ttmp6, 0x40008
	s_mul_i32 s0, s1, s0
	s_delay_alu instid0(SALU_CYCLE_1)
	s_add_co_i32 s6, s6, s0
	s_cmp_eq_u32 s2, 0
	s_cselect_b32 s2, s1, s6
	s_wait_kmcnt 0x0
	v_mul_u64_e32 v[0:1], s[20:21], v[4:5]
	v_mul_u64_e32 v[2:3], s[22:23], v[2:3]
	s_mul_u64 s[0:1], s[26:27], s[2:3]
	s_lshl_b64 s[6:7], s[24:25], 4
	s_lshl_b64 s[0:1], s[0:1], 4
	s_delay_alu instid0(SALU_CYCLE_1) | instskip(NEXT) | instid1(SALU_CYCLE_1)
	s_add_nc_u64 s[0:1], s[18:19], s[0:1]
	s_add_nc_u64 s[0:1], s[0:1], s[6:7]
	s_delay_alu instid0(VALU_DEP_2) | instid1(SALU_CYCLE_1)
	v_lshl_add_u64 v[0:1], v[0:1], 4, s[0:1]
	v_cmp_lt_i64_e64 s0, s[4:5], 2
	s_delay_alu instid0(VALU_DEP_2)
	v_lshl_add_u64 v[6:7], v[2:3], 4, v[0:1]
	s_and_b32 vcc_lo, exec_lo, s0
	global_load_b128 v[0:3], v[6:7], off
	s_cbranch_vccnz .LBB20_8
; %bb.2:
	v_mul_u64_e32 v[10:11], s[10:11], v[4:5]
	s_add_nc_u64 s[0:1], s[4:5], -1
	s_mul_u64 s[2:3], s[16:17], s[2:3]
	s_mul_u64 s[4:5], s[12:13], s[0:1]
	s_lshl_b64 s[2:3], s[2:3], 4
	s_lshl_b64 s[4:5], s[4:5], 4
	;; [unrolled: 1-line block ×3, first 2 shown]
	s_add_nc_u64 s[2:3], s[4:5], s[2:3]
	s_add_nc_u64 s[4:5], s[8:9], s[6:7]
	v_lshl_add_u32 v14, v8, 4, 0
	s_add_nc_u64 s[2:3], s[4:5], s[2:3]
	s_delay_alu instid0(VALU_DEP_2) | instid1(SALU_CYCLE_1)
	v_lshl_add_u64 v[10:11], v[10:11], 4, s[2:3]
	s_lshl_b64 s[2:3], s[12:13], 4
	s_delay_alu instid0(SALU_CYCLE_1) | instskip(NEXT) | instid1(VALU_DEP_1)
	s_sub_nc_u64 s[2:3], 0, s[2:3]
	v_add_nc_u64_e32 v[10:11], 8, v[10:11]
	s_branch .LBB20_4
.LBB20_3:                               ;   in Loop: Header=BB20_4 Depth=1
	s_or_b32 exec_lo, exec_lo, s4
	s_delay_alu instid0(VALU_DEP_2) | instskip(NEXT) | instid1(VALU_DEP_2)
	v_add_f64_e64 v[0:1], v[0:1], -v[8:9]
	v_add_f64_e64 v[2:3], v[2:3], -v[12:13]
	s_add_nc_u64 s[4:5], s[0:1], 1
	v_add_nc_u64_e32 v[10:11], s[2:3], v[10:11]
	v_cmp_lt_u64_e64 s4, s[4:5], 3
	s_add_nc_u64 s[0:1], s[0:1], -1
	s_and_b32 vcc_lo, exec_lo, s4
	s_cbranch_vccnz .LBB20_8
.LBB20_4:                               ; =>This Inner Loop Header: Depth=1
	s_mov_b32 s4, exec_lo
	s_wait_loadcnt 0x0
	s_barrier_signal -1
	s_barrier_wait -1
	s_wait_xcnt 0x0
	v_cmpx_eq_u64_e64 s[0:1], v[4:5]
; %bb.5:                                ;   in Loop: Header=BB20_4 Depth=1
	ds_store_2addr_b64 v14, v[0:1], v[2:3] offset1:1
; %bb.6:                                ;   in Loop: Header=BB20_4 Depth=1
	s_or_b32 exec_lo, exec_lo, s4
	v_mov_b64_e32 v[12:13], 0
	v_mov_b64_e32 v[8:9], 0
	s_mov_b32 s4, exec_lo
	s_wait_dscnt 0x0
	s_barrier_signal -1
	s_barrier_wait -1
	v_cmpx_gt_i64_e64 s[0:1], v[4:5]
	s_cbranch_execz .LBB20_3
; %bb.7:                                ;   in Loop: Header=BB20_4 Depth=1
	global_load_b128 v[16:19], v[10:11], off offset:-8
	ds_load_2addr_b64 v[20:23], v14 offset1:1
	s_wait_loadcnt_dscnt 0x0
	v_mul_f64_e32 v[8:9], v[18:19], v[22:23]
	v_mul_f64_e32 v[12:13], v[18:19], v[20:21]
	s_delay_alu instid0(VALU_DEP_2) | instskip(NEXT) | instid1(VALU_DEP_2)
	v_fmac_f64_e32 v[8:9], v[16:17], v[20:21]
	v_fma_f64 v[12:13], v[16:17], v[22:23], -v[12:13]
	s_branch .LBB20_3
.LBB20_8:
	s_wait_loadcnt 0x0
	global_store_b128 v[6:7], v[0:3], off
.LBB20_9:
	s_endpgm
	.section	.rodata,"a",@progbits
	.p2align	6, 0x0
	.amdhsa_kernel _ZN9rocsolver6v33100L38conj_unit_backward_substitution_kernelI19rocblas_complex_numIdElPS3_EEvT0_S5_T1_S5_S5_llS6_S5_S5_ll
		.amdhsa_group_segment_fixed_size 0
		.amdhsa_private_segment_fixed_size 0
		.amdhsa_kernarg_size 352
		.amdhsa_user_sgpr_count 2
		.amdhsa_user_sgpr_dispatch_ptr 0
		.amdhsa_user_sgpr_queue_ptr 0
		.amdhsa_user_sgpr_kernarg_segment_ptr 1
		.amdhsa_user_sgpr_dispatch_id 0
		.amdhsa_user_sgpr_kernarg_preload_length 0
		.amdhsa_user_sgpr_kernarg_preload_offset 0
		.amdhsa_user_sgpr_private_segment_size 0
		.amdhsa_wavefront_size32 1
		.amdhsa_uses_dynamic_stack 0
		.amdhsa_enable_private_segment 0
		.amdhsa_system_sgpr_workgroup_id_x 1
		.amdhsa_system_sgpr_workgroup_id_y 1
		.amdhsa_system_sgpr_workgroup_id_z 1
		.amdhsa_system_sgpr_workgroup_info 0
		.amdhsa_system_vgpr_workitem_id 1
		.amdhsa_next_free_vgpr 24
		.amdhsa_next_free_sgpr 28
		.amdhsa_named_barrier_count 0
		.amdhsa_reserve_vcc 1
		.amdhsa_float_round_mode_32 0
		.amdhsa_float_round_mode_16_64 0
		.amdhsa_float_denorm_mode_32 3
		.amdhsa_float_denorm_mode_16_64 3
		.amdhsa_fp16_overflow 0
		.amdhsa_memory_ordered 1
		.amdhsa_forward_progress 1
		.amdhsa_inst_pref_size 5
		.amdhsa_round_robin_scheduling 0
		.amdhsa_exception_fp_ieee_invalid_op 0
		.amdhsa_exception_fp_denorm_src 0
		.amdhsa_exception_fp_ieee_div_zero 0
		.amdhsa_exception_fp_ieee_overflow 0
		.amdhsa_exception_fp_ieee_underflow 0
		.amdhsa_exception_fp_ieee_inexact 0
		.amdhsa_exception_int_div_zero 0
	.end_amdhsa_kernel
	.section	.text._ZN9rocsolver6v33100L38conj_unit_backward_substitution_kernelI19rocblas_complex_numIdElPS3_EEvT0_S5_T1_S5_S5_llS6_S5_S5_ll,"axG",@progbits,_ZN9rocsolver6v33100L38conj_unit_backward_substitution_kernelI19rocblas_complex_numIdElPS3_EEvT0_S5_T1_S5_S5_llS6_S5_S5_ll,comdat
.Lfunc_end20:
	.size	_ZN9rocsolver6v33100L38conj_unit_backward_substitution_kernelI19rocblas_complex_numIdElPS3_EEvT0_S5_T1_S5_S5_llS6_S5_S5_ll, .Lfunc_end20-_ZN9rocsolver6v33100L38conj_unit_backward_substitution_kernelI19rocblas_complex_numIdElPS3_EEvT0_S5_T1_S5_S5_llS6_S5_S5_ll
                                        ; -- End function
	.set _ZN9rocsolver6v33100L38conj_unit_backward_substitution_kernelI19rocblas_complex_numIdElPS3_EEvT0_S5_T1_S5_S5_llS6_S5_S5_ll.num_vgpr, 24
	.set _ZN9rocsolver6v33100L38conj_unit_backward_substitution_kernelI19rocblas_complex_numIdElPS3_EEvT0_S5_T1_S5_S5_llS6_S5_S5_ll.num_agpr, 0
	.set _ZN9rocsolver6v33100L38conj_unit_backward_substitution_kernelI19rocblas_complex_numIdElPS3_EEvT0_S5_T1_S5_S5_llS6_S5_S5_ll.numbered_sgpr, 28
	.set _ZN9rocsolver6v33100L38conj_unit_backward_substitution_kernelI19rocblas_complex_numIdElPS3_EEvT0_S5_T1_S5_S5_llS6_S5_S5_ll.num_named_barrier, 0
	.set _ZN9rocsolver6v33100L38conj_unit_backward_substitution_kernelI19rocblas_complex_numIdElPS3_EEvT0_S5_T1_S5_S5_llS6_S5_S5_ll.private_seg_size, 0
	.set _ZN9rocsolver6v33100L38conj_unit_backward_substitution_kernelI19rocblas_complex_numIdElPS3_EEvT0_S5_T1_S5_S5_llS6_S5_S5_ll.uses_vcc, 1
	.set _ZN9rocsolver6v33100L38conj_unit_backward_substitution_kernelI19rocblas_complex_numIdElPS3_EEvT0_S5_T1_S5_S5_llS6_S5_S5_ll.uses_flat_scratch, 0
	.set _ZN9rocsolver6v33100L38conj_unit_backward_substitution_kernelI19rocblas_complex_numIdElPS3_EEvT0_S5_T1_S5_S5_llS6_S5_S5_ll.has_dyn_sized_stack, 0
	.set _ZN9rocsolver6v33100L38conj_unit_backward_substitution_kernelI19rocblas_complex_numIdElPS3_EEvT0_S5_T1_S5_S5_llS6_S5_S5_ll.has_recursion, 0
	.set _ZN9rocsolver6v33100L38conj_unit_backward_substitution_kernelI19rocblas_complex_numIdElPS3_EEvT0_S5_T1_S5_S5_llS6_S5_S5_ll.has_indirect_call, 0
	.section	.AMDGPU.csdata,"",@progbits
; Kernel info:
; codeLenInByte = 548
; TotalNumSgprs: 30
; NumVgprs: 24
; ScratchSize: 0
; MemoryBound: 0
; FloatMode: 240
; IeeeMode: 1
; LDSByteSize: 0 bytes/workgroup (compile time only)
; SGPRBlocks: 0
; VGPRBlocks: 1
; NumSGPRsForWavesPerEU: 30
; NumVGPRsForWavesPerEU: 24
; NamedBarCnt: 0
; Occupancy: 16
; WaveLimiterHint : 0
; COMPUTE_PGM_RSRC2:SCRATCH_EN: 0
; COMPUTE_PGM_RSRC2:USER_SGPR: 2
; COMPUTE_PGM_RSRC2:TRAP_HANDLER: 0
; COMPUTE_PGM_RSRC2:TGID_X_EN: 1
; COMPUTE_PGM_RSRC2:TGID_Y_EN: 1
; COMPUTE_PGM_RSRC2:TGID_Z_EN: 1
; COMPUTE_PGM_RSRC2:TIDIG_COMP_CNT: 1
	.section	.text._ZN9rocsolver6v33100L41conj_nonunit_backward_substitution_kernelI19rocblas_complex_numIdElPS3_EEvT0_S5_T1_S5_S5_llS6_S5_S5_ll,"axG",@progbits,_ZN9rocsolver6v33100L41conj_nonunit_backward_substitution_kernelI19rocblas_complex_numIdElPS3_EEvT0_S5_T1_S5_S5_llS6_S5_S5_ll,comdat
	.globl	_ZN9rocsolver6v33100L41conj_nonunit_backward_substitution_kernelI19rocblas_complex_numIdElPS3_EEvT0_S5_T1_S5_S5_llS6_S5_S5_ll ; -- Begin function _ZN9rocsolver6v33100L41conj_nonunit_backward_substitution_kernelI19rocblas_complex_numIdElPS3_EEvT0_S5_T1_S5_S5_llS6_S5_S5_ll
	.p2align	8
	.type	_ZN9rocsolver6v33100L41conj_nonunit_backward_substitution_kernelI19rocblas_complex_numIdElPS3_EEvT0_S5_T1_S5_S5_llS6_S5_S5_ll,@function
_ZN9rocsolver6v33100L41conj_nonunit_backward_substitution_kernelI19rocblas_complex_numIdElPS3_EEvT0_S5_T1_S5_S5_llS6_S5_S5_ll: ; @_ZN9rocsolver6v33100L41conj_nonunit_backward_substitution_kernelI19rocblas_complex_numIdElPS3_EEvT0_S5_T1_S5_S5_llS6_S5_S5_ll
; %bb.0:
	s_clause 0x1
	s_load_u16 s3, s[0:1], 0x6e
	s_load_b512 s[4:19], s[0:1], 0x0
	s_bfe_u32 s2, ttmp6, 0x40010
	v_mov_b32_e32 v11, 0
	s_and_b32 s20, ttmp7, 0xffff
	s_add_co_i32 s2, s2, 1
	s_bfe_u32 s22, ttmp6, 0x40004
	s_mul_i32 s21, s20, s2
	s_getreg_b32 s2, hwreg(HW_REG_IB_STS2, 6, 4)
	v_bfe_u32 v4, v0, 10, 10
	v_mov_b32_e32 v5, v11
	s_add_co_i32 s22, s22, s21
	s_cmp_eq_u32 s2, 0
	s_cselect_b32 s20, s20, s22
	s_wait_kmcnt 0x0
	v_mad_nc_u64_u32 v[2:3], s3, s20, v[4:5]
	s_mov_b32 s3, 0
	s_delay_alu instid0(VALU_DEP_1)
	v_cmp_gt_i64_e32 vcc_lo, s[6:7], v[2:3]
	s_and_saveexec_b32 s6, vcc_lo
	s_cbranch_execz .LBB21_19
; %bb.1:
	s_load_b256 s[20:27], s[0:1], 0x40
	v_and_b32_e32 v10, 0x3ff, v0
	s_wait_xcnt 0x0
	s_bfe_u32 s0, ttmp6, 0x40014
	s_lshr_b32 s1, ttmp7, 16
	s_add_co_i32 s0, s0, 1
	s_bfe_u32 s6, ttmp6, 0x40008
	s_mul_i32 s0, s1, s0
	s_delay_alu instid0(SALU_CYCLE_1)
	s_add_co_i32 s6, s6, s0
	s_cmp_eq_u32 s2, 0
	s_cselect_b32 s2, s1, s6
	s_lshl_b64 s[14:15], s[14:15], 4
	s_wait_kmcnt 0x0
	v_mul_u64_e32 v[0:1], s[20:21], v[10:11]
	v_mul_u64_e32 v[2:3], s[22:23], v[2:3]
	s_mul_u64 s[0:1], s[26:27], s[2:3]
	s_lshl_b64 s[6:7], s[24:25], 4
	s_lshl_b64 s[0:1], s[0:1], 4
	s_delay_alu instid0(SALU_CYCLE_1) | instskip(NEXT) | instid1(SALU_CYCLE_1)
	s_add_nc_u64 s[0:1], s[18:19], s[0:1]
	s_add_nc_u64 s[0:1], s[0:1], s[6:7]
	v_cmp_lt_i64_e64 s6, s[4:5], 2
	s_and_b32 vcc_lo, exec_lo, s6
	v_lshl_add_u64 v[0:1], v[0:1], 4, s[0:1]
	s_mul_u64 s[0:1], s[16:17], s[2:3]
	s_delay_alu instid0(SALU_CYCLE_1) | instskip(NEXT) | instid1(SALU_CYCLE_1)
	s_lshl_b64 s[2:3], s[0:1], 4
	s_add_nc_u64 s[0:1], s[8:9], s[2:3]
	s_delay_alu instid0(VALU_DEP_1)
	v_lshl_add_u64 v[8:9], v[2:3], 4, v[0:1]
	s_add_nc_u64 s[6:7], s[0:1], s[14:15]
	global_load_b128 v[0:3], v[8:9], off
	s_cbranch_vccnz .LBB21_12
; %bb.2:
	v_mul_u64_e32 v[6:7], s[10:11], v[10:11]
	s_add_nc_u64 s[0:1], s[12:13], s[10:11]
	v_lshl_add_u32 v16, v4, 4, 0
	v_mul_u64_e32 v[14:15], s[0:1], v[10:11]
	s_add_nc_u64 s[0:1], s[4:5], -1
	s_delay_alu instid0(SALU_CYCLE_1) | instskip(NEXT) | instid1(SALU_CYCLE_1)
	s_mul_u64 s[4:5], s[12:13], s[0:1]
	s_lshl_b64 s[4:5], s[4:5], 4
	s_delay_alu instid0(SALU_CYCLE_1) | instskip(SKIP_1) | instid1(SALU_CYCLE_1)
	s_add_nc_u64 s[2:3], s[4:5], s[2:3]
	s_add_nc_u64 s[4:5], s[8:9], s[14:15]
	;; [unrolled: 1-line block ×3, first 2 shown]
	s_delay_alu instid0(VALU_DEP_3) | instid1(SALU_CYCLE_1)
	v_lshl_add_u64 v[6:7], v[6:7], 4, s[2:3]
	s_lshl_b64 s[2:3], s[12:13], 4
	s_delay_alu instid0(VALU_DEP_2) | instskip(SKIP_1) | instid1(VALU_DEP_2)
	v_lshl_add_u64 v[14:15], v[14:15], 4, s[6:7]
	s_sub_nc_u64 s[2:3], 0, s[2:3]
	v_add_nc_u64_e32 v[12:13], 8, v[6:7]
	s_branch .LBB21_4
.LBB21_3:                               ;   in Loop: Header=BB21_4 Depth=1
	s_or_b32 exec_lo, exec_lo, s4
	s_delay_alu instid0(VALU_DEP_2) | instskip(NEXT) | instid1(VALU_DEP_2)
	v_add_f64_e64 v[0:1], v[0:1], -v[4:5]
	v_add_f64_e64 v[2:3], v[2:3], -v[6:7]
	s_add_nc_u64 s[4:5], s[0:1], 1
	v_add_nc_u64_e32 v[12:13], s[2:3], v[12:13]
	v_cmp_lt_u64_e64 s4, s[4:5], 3
	s_add_nc_u64 s[0:1], s[0:1], -1
	s_and_b32 vcc_lo, exec_lo, s4
	s_cbranch_vccnz .LBB21_12
.LBB21_4:                               ; =>This Inner Loop Header: Depth=1
	s_mov_b32 s4, exec_lo
	s_wait_loadcnt 0x0
	s_barrier_signal -1
	s_barrier_wait -1
	s_wait_xcnt 0x0
	v_cmpx_eq_u64_e64 s[0:1], v[10:11]
	s_cbranch_execz .LBB21_10
; %bb.5:                                ;   in Loop: Header=BB21_4 Depth=1
	global_load_b128 v[4:7], v[14:15], off
	s_wait_loadcnt 0x0
	v_cmp_ngt_f64_e64 s5, |v[4:5]|, |v[6:7]|
	s_and_saveexec_b32 s8, s5
	s_delay_alu instid0(SALU_CYCLE_1)
	s_xor_b32 s5, exec_lo, s8
	s_cbranch_execz .LBB21_7
; %bb.6:                                ;   in Loop: Header=BB21_4 Depth=1
	v_div_scale_f64 v[18:19], null, -v[6:7], -v[6:7], v[4:5]
	v_div_scale_f64 v[24:25], vcc_lo, v[4:5], -v[6:7], v[4:5]
	s_delay_alu instid0(VALU_DEP_2) | instskip(SKIP_1) | instid1(TRANS32_DEP_1)
	v_rcp_f64_e32 v[20:21], v[18:19]
	v_nop
	v_fma_f64 v[22:23], -v[18:19], v[20:21], 1.0
	s_delay_alu instid0(VALU_DEP_1) | instskip(NEXT) | instid1(VALU_DEP_1)
	v_fmac_f64_e32 v[20:21], v[20:21], v[22:23]
	v_fma_f64 v[22:23], -v[18:19], v[20:21], 1.0
	s_delay_alu instid0(VALU_DEP_1) | instskip(NEXT) | instid1(VALU_DEP_1)
	v_fmac_f64_e32 v[20:21], v[20:21], v[22:23]
	v_mul_f64_e32 v[22:23], v[24:25], v[20:21]
	s_delay_alu instid0(VALU_DEP_1) | instskip(NEXT) | instid1(VALU_DEP_1)
	v_fma_f64 v[18:19], -v[18:19], v[22:23], v[24:25]
	v_div_fmas_f64 v[18:19], v[18:19], v[20:21], v[22:23]
	s_delay_alu instid0(VALU_DEP_1) | instskip(NEXT) | instid1(VALU_DEP_1)
	v_div_fixup_f64 v[18:19], v[18:19], -v[6:7], v[4:5]
	v_fma_f64 v[4:5], v[4:5], v[18:19], -v[6:7]
	s_delay_alu instid0(VALU_DEP_1) | instskip(SKIP_1) | instid1(VALU_DEP_2)
	v_div_scale_f64 v[6:7], null, v[4:5], v[4:5], 1.0
	v_div_scale_f64 v[24:25], vcc_lo, 1.0, v[4:5], 1.0
	v_rcp_f64_e32 v[20:21], v[6:7]
	v_nop
	s_delay_alu instid0(TRANS32_DEP_1) | instskip(NEXT) | instid1(VALU_DEP_1)
	v_fma_f64 v[22:23], -v[6:7], v[20:21], 1.0
	v_fmac_f64_e32 v[20:21], v[20:21], v[22:23]
	s_delay_alu instid0(VALU_DEP_1) | instskip(NEXT) | instid1(VALU_DEP_1)
	v_fma_f64 v[22:23], -v[6:7], v[20:21], 1.0
	v_fmac_f64_e32 v[20:21], v[20:21], v[22:23]
	s_delay_alu instid0(VALU_DEP_1) | instskip(NEXT) | instid1(VALU_DEP_1)
	v_mul_f64_e32 v[22:23], v[24:25], v[20:21]
	v_fma_f64 v[6:7], -v[6:7], v[22:23], v[24:25]
	s_delay_alu instid0(VALU_DEP_1) | instskip(NEXT) | instid1(VALU_DEP_1)
	v_div_fmas_f64 v[6:7], v[6:7], v[20:21], v[22:23]
	v_div_fixup_f64 v[4:5], v[6:7], v[4:5], 1.0
	v_fma_f64 v[6:7], v[0:1], v[18:19], v[2:3]
	v_fma_f64 v[0:1], v[2:3], v[18:19], -v[0:1]
	s_delay_alu instid0(VALU_DEP_2) | instskip(NEXT) | instid1(VALU_DEP_2)
	v_mul_f64_e32 v[6:7], v[6:7], v[4:5]
	v_mul_f64_e32 v[2:3], v[0:1], v[4:5]
	s_delay_alu instid0(VALU_DEP_2)
	v_mov_b64_e32 v[0:1], v[6:7]
                                        ; implicit-def: $vgpr4_vgpr5
.LBB21_7:                               ;   in Loop: Header=BB21_4 Depth=1
	s_and_not1_saveexec_b32 s5, s5
	s_cbranch_execz .LBB21_9
; %bb.8:                                ;   in Loop: Header=BB21_4 Depth=1
	v_div_scale_f64 v[18:19], null, v[4:5], v[4:5], -v[6:7]
	v_div_scale_f64 v[24:25], vcc_lo, -v[6:7], v[4:5], -v[6:7]
	s_delay_alu instid0(VALU_DEP_2) | instskip(SKIP_1) | instid1(TRANS32_DEP_1)
	v_rcp_f64_e32 v[20:21], v[18:19]
	v_nop
	v_fma_f64 v[22:23], -v[18:19], v[20:21], 1.0
	s_delay_alu instid0(VALU_DEP_1) | instskip(NEXT) | instid1(VALU_DEP_1)
	v_fmac_f64_e32 v[20:21], v[20:21], v[22:23]
	v_fma_f64 v[22:23], -v[18:19], v[20:21], 1.0
	s_delay_alu instid0(VALU_DEP_1) | instskip(NEXT) | instid1(VALU_DEP_1)
	v_fmac_f64_e32 v[20:21], v[20:21], v[22:23]
	v_mul_f64_e32 v[22:23], v[24:25], v[20:21]
	s_delay_alu instid0(VALU_DEP_1) | instskip(NEXT) | instid1(VALU_DEP_1)
	v_fma_f64 v[18:19], -v[18:19], v[22:23], v[24:25]
	v_div_fmas_f64 v[18:19], v[18:19], v[20:21], v[22:23]
	s_delay_alu instid0(VALU_DEP_1) | instskip(NEXT) | instid1(VALU_DEP_1)
	v_div_fixup_f64 v[18:19], v[18:19], v[4:5], -v[6:7]
	v_fma_f64 v[4:5], -v[6:7], v[18:19], v[4:5]
	s_delay_alu instid0(VALU_DEP_1) | instskip(SKIP_1) | instid1(VALU_DEP_2)
	v_div_scale_f64 v[6:7], null, v[4:5], v[4:5], 1.0
	v_div_scale_f64 v[24:25], vcc_lo, 1.0, v[4:5], 1.0
	v_rcp_f64_e32 v[20:21], v[6:7]
	v_nop
	s_delay_alu instid0(TRANS32_DEP_1) | instskip(NEXT) | instid1(VALU_DEP_1)
	v_fma_f64 v[22:23], -v[6:7], v[20:21], 1.0
	v_fmac_f64_e32 v[20:21], v[20:21], v[22:23]
	s_delay_alu instid0(VALU_DEP_1) | instskip(NEXT) | instid1(VALU_DEP_1)
	v_fma_f64 v[22:23], -v[6:7], v[20:21], 1.0
	v_fmac_f64_e32 v[20:21], v[20:21], v[22:23]
	s_delay_alu instid0(VALU_DEP_1) | instskip(NEXT) | instid1(VALU_DEP_1)
	v_mul_f64_e32 v[22:23], v[24:25], v[20:21]
	v_fma_f64 v[6:7], -v[6:7], v[22:23], v[24:25]
	s_delay_alu instid0(VALU_DEP_1) | instskip(NEXT) | instid1(VALU_DEP_1)
	v_div_fmas_f64 v[6:7], v[6:7], v[20:21], v[22:23]
	v_div_fixup_f64 v[4:5], v[6:7], v[4:5], 1.0
	v_fma_f64 v[6:7], v[2:3], v[18:19], v[0:1]
	v_fma_f64 v[0:1], -v[0:1], v[18:19], v[2:3]
	s_delay_alu instid0(VALU_DEP_2) | instskip(NEXT) | instid1(VALU_DEP_2)
	v_mul_f64_e32 v[6:7], v[6:7], v[4:5]
	v_mul_f64_e32 v[2:3], v[0:1], v[4:5]
	s_delay_alu instid0(VALU_DEP_2)
	v_mov_b64_e32 v[0:1], v[6:7]
.LBB21_9:                               ;   in Loop: Header=BB21_4 Depth=1
	s_or_b32 exec_lo, exec_lo, s5
	ds_store_2addr_b64 v16, v[0:1], v[2:3] offset1:1
.LBB21_10:                              ;   in Loop: Header=BB21_4 Depth=1
	s_or_b32 exec_lo, exec_lo, s4
	v_mov_b64_e32 v[4:5], 0
	v_mov_b64_e32 v[6:7], 0
	s_mov_b32 s4, exec_lo
	s_wait_dscnt 0x0
	s_barrier_signal -1
	s_barrier_wait -1
	v_cmpx_gt_i64_e64 s[0:1], v[10:11]
	s_cbranch_execz .LBB21_3
; %bb.11:                               ;   in Loop: Header=BB21_4 Depth=1
	global_load_b128 v[18:21], v[12:13], off offset:-8
	ds_load_2addr_b64 v[22:25], v16 offset1:1
	s_wait_loadcnt_dscnt 0x0
	v_mul_f64_e32 v[4:5], v[20:21], v[24:25]
	v_mul_f64_e32 v[6:7], v[20:21], v[22:23]
	s_delay_alu instid0(VALU_DEP_2) | instskip(NEXT) | instid1(VALU_DEP_2)
	v_fmac_f64_e32 v[4:5], v[18:19], v[22:23]
	v_fma_f64 v[6:7], v[18:19], v[24:25], -v[6:7]
	s_branch .LBB21_3
.LBB21_12:
	s_mov_b32 s4, exec_lo
	s_wait_xcnt 0x0
	v_cmpx_eq_u32_e32 0, v10
	s_cbranch_execz .LBB21_18
; %bb.13:
	s_load_b128 s[0:3], s[6:7], 0x0
	s_wait_kmcnt 0x0
	v_cmp_ngt_f64_e64 s5, |s[0:1]|, |s[2:3]|
	s_and_b32 vcc_lo, exec_lo, s5
	s_cbranch_vccz .LBB21_15
; %bb.14:
	v_div_scale_f64 v[4:5], null, -s[2:3], -s[2:3], s[0:1]
	v_div_scale_f64 v[12:13], vcc_lo, s[0:1], -s[2:3], s[0:1]
	s_delay_alu instid0(VALU_DEP_2) | instskip(SKIP_1) | instid1(TRANS32_DEP_1)
	v_rcp_f64_e32 v[6:7], v[4:5]
	v_nop
	v_fma_f64 v[10:11], -v[4:5], v[6:7], 1.0
	s_delay_alu instid0(VALU_DEP_1) | instskip(NEXT) | instid1(VALU_DEP_1)
	v_fmac_f64_e32 v[6:7], v[6:7], v[10:11]
	v_fma_f64 v[10:11], -v[4:5], v[6:7], 1.0
	s_delay_alu instid0(VALU_DEP_1) | instskip(NEXT) | instid1(VALU_DEP_1)
	v_fmac_f64_e32 v[6:7], v[6:7], v[10:11]
	v_mul_f64_e32 v[10:11], v[12:13], v[6:7]
	s_delay_alu instid0(VALU_DEP_1) | instskip(NEXT) | instid1(VALU_DEP_1)
	v_fma_f64 v[4:5], -v[4:5], v[10:11], v[12:13]
	v_div_fmas_f64 v[4:5], v[4:5], v[6:7], v[10:11]
	s_delay_alu instid0(VALU_DEP_1) | instskip(NEXT) | instid1(VALU_DEP_1)
	v_div_fixup_f64 v[4:5], v[4:5], -s[2:3], s[0:1]
	v_fma_f64 v[6:7], s[0:1], v[4:5], -s[2:3]
	s_delay_alu instid0(VALU_DEP_1) | instskip(SKIP_1) | instid1(VALU_DEP_2)
	v_div_scale_f64 v[10:11], null, v[6:7], v[6:7], 1.0
	v_div_scale_f64 v[16:17], vcc_lo, 1.0, v[6:7], 1.0
	v_rcp_f64_e32 v[12:13], v[10:11]
	v_nop
	s_delay_alu instid0(TRANS32_DEP_1) | instskip(NEXT) | instid1(VALU_DEP_1)
	v_fma_f64 v[14:15], -v[10:11], v[12:13], 1.0
	v_fmac_f64_e32 v[12:13], v[12:13], v[14:15]
	s_delay_alu instid0(VALU_DEP_1) | instskip(NEXT) | instid1(VALU_DEP_1)
	v_fma_f64 v[14:15], -v[10:11], v[12:13], 1.0
	v_fmac_f64_e32 v[12:13], v[12:13], v[14:15]
	s_delay_alu instid0(VALU_DEP_1) | instskip(NEXT) | instid1(VALU_DEP_1)
	v_mul_f64_e32 v[14:15], v[16:17], v[12:13]
	v_fma_f64 v[10:11], -v[10:11], v[14:15], v[16:17]
	s_delay_alu instid0(VALU_DEP_1) | instskip(SKIP_3) | instid1(VALU_DEP_3)
	v_div_fmas_f64 v[10:11], v[10:11], v[12:13], v[14:15]
	s_wait_loadcnt 0x0
	v_fma_f64 v[12:13], v[0:1], v[4:5], v[2:3]
	v_fma_f64 v[4:5], v[2:3], v[4:5], -v[0:1]
	v_div_fixup_f64 v[10:11], v[10:11], v[6:7], 1.0
	s_delay_alu instid0(VALU_DEP_1) | instskip(NEXT) | instid1(VALU_DEP_3)
	v_mul_f64_e32 v[6:7], v[12:13], v[10:11]
	v_mul_f64_e32 v[4:5], v[4:5], v[10:11]
	s_cbranch_execz .LBB21_16
	s_branch .LBB21_17
.LBB21_15:
                                        ; implicit-def: $vgpr4_vgpr5
                                        ; implicit-def: $vgpr6_vgpr7
.LBB21_16:
	v_div_scale_f64 v[4:5], null, s[0:1], s[0:1], -s[2:3]
	v_div_scale_f64 v[12:13], vcc_lo, -s[2:3], s[0:1], -s[2:3]
	s_delay_alu instid0(VALU_DEP_2) | instskip(SKIP_1) | instid1(TRANS32_DEP_1)
	v_rcp_f64_e32 v[6:7], v[4:5]
	v_nop
	v_fma_f64 v[10:11], -v[4:5], v[6:7], 1.0
	s_delay_alu instid0(VALU_DEP_1) | instskip(NEXT) | instid1(VALU_DEP_1)
	v_fmac_f64_e32 v[6:7], v[6:7], v[10:11]
	v_fma_f64 v[10:11], -v[4:5], v[6:7], 1.0
	s_delay_alu instid0(VALU_DEP_1) | instskip(NEXT) | instid1(VALU_DEP_1)
	v_fmac_f64_e32 v[6:7], v[6:7], v[10:11]
	v_mul_f64_e32 v[10:11], v[12:13], v[6:7]
	s_delay_alu instid0(VALU_DEP_1) | instskip(NEXT) | instid1(VALU_DEP_1)
	v_fma_f64 v[4:5], -v[4:5], v[10:11], v[12:13]
	v_div_fmas_f64 v[4:5], v[4:5], v[6:7], v[10:11]
	s_delay_alu instid0(VALU_DEP_1) | instskip(NEXT) | instid1(VALU_DEP_1)
	v_div_fixup_f64 v[4:5], v[4:5], s[0:1], -s[2:3]
	v_fma_f64 v[6:7], -s[2:3], v[4:5], s[0:1]
	s_delay_alu instid0(VALU_DEP_1) | instskip(SKIP_1) | instid1(VALU_DEP_2)
	v_div_scale_f64 v[10:11], null, v[6:7], v[6:7], 1.0
	v_div_scale_f64 v[16:17], vcc_lo, 1.0, v[6:7], 1.0
	v_rcp_f64_e32 v[12:13], v[10:11]
	v_nop
	s_delay_alu instid0(TRANS32_DEP_1) | instskip(NEXT) | instid1(VALU_DEP_1)
	v_fma_f64 v[14:15], -v[10:11], v[12:13], 1.0
	v_fmac_f64_e32 v[12:13], v[12:13], v[14:15]
	s_delay_alu instid0(VALU_DEP_1) | instskip(NEXT) | instid1(VALU_DEP_1)
	v_fma_f64 v[14:15], -v[10:11], v[12:13], 1.0
	v_fmac_f64_e32 v[12:13], v[12:13], v[14:15]
	s_delay_alu instid0(VALU_DEP_1) | instskip(NEXT) | instid1(VALU_DEP_1)
	v_mul_f64_e32 v[14:15], v[16:17], v[12:13]
	v_fma_f64 v[10:11], -v[10:11], v[14:15], v[16:17]
	s_delay_alu instid0(VALU_DEP_1) | instskip(SKIP_3) | instid1(VALU_DEP_3)
	v_div_fmas_f64 v[10:11], v[10:11], v[12:13], v[14:15]
	s_wait_loadcnt 0x0
	v_fma_f64 v[12:13], v[2:3], v[4:5], v[0:1]
	v_fma_f64 v[0:1], -v[0:1], v[4:5], v[2:3]
	v_div_fixup_f64 v[10:11], v[10:11], v[6:7], 1.0
	s_delay_alu instid0(VALU_DEP_1) | instskip(NEXT) | instid1(VALU_DEP_3)
	v_mul_f64_e32 v[6:7], v[12:13], v[10:11]
	v_mul_f64_e32 v[4:5], v[0:1], v[10:11]
.LBB21_17:
	s_wait_loadcnt 0x0
	s_delay_alu instid0(VALU_DEP_2) | instskip(NEXT) | instid1(VALU_DEP_2)
	v_mov_b64_e32 v[0:1], v[6:7]
	v_mov_b64_e32 v[2:3], v[4:5]
.LBB21_18:
	s_or_b32 exec_lo, exec_lo, s4
	s_wait_loadcnt 0x0
	global_store_b128 v[8:9], v[0:3], off
.LBB21_19:
	s_endpgm
	.section	.rodata,"a",@progbits
	.p2align	6, 0x0
	.amdhsa_kernel _ZN9rocsolver6v33100L41conj_nonunit_backward_substitution_kernelI19rocblas_complex_numIdElPS3_EEvT0_S5_T1_S5_S5_llS6_S5_S5_ll
		.amdhsa_group_segment_fixed_size 0
		.amdhsa_private_segment_fixed_size 0
		.amdhsa_kernarg_size 352
		.amdhsa_user_sgpr_count 2
		.amdhsa_user_sgpr_dispatch_ptr 0
		.amdhsa_user_sgpr_queue_ptr 0
		.amdhsa_user_sgpr_kernarg_segment_ptr 1
		.amdhsa_user_sgpr_dispatch_id 0
		.amdhsa_user_sgpr_kernarg_preload_length 0
		.amdhsa_user_sgpr_kernarg_preload_offset 0
		.amdhsa_user_sgpr_private_segment_size 0
		.amdhsa_wavefront_size32 1
		.amdhsa_uses_dynamic_stack 0
		.amdhsa_enable_private_segment 0
		.amdhsa_system_sgpr_workgroup_id_x 1
		.amdhsa_system_sgpr_workgroup_id_y 1
		.amdhsa_system_sgpr_workgroup_id_z 1
		.amdhsa_system_sgpr_workgroup_info 0
		.amdhsa_system_vgpr_workitem_id 1
		.amdhsa_next_free_vgpr 26
		.amdhsa_next_free_sgpr 28
		.amdhsa_named_barrier_count 0
		.amdhsa_reserve_vcc 1
		.amdhsa_float_round_mode_32 0
		.amdhsa_float_round_mode_16_64 0
		.amdhsa_float_denorm_mode_32 3
		.amdhsa_float_denorm_mode_16_64 3
		.amdhsa_fp16_overflow 0
		.amdhsa_memory_ordered 1
		.amdhsa_forward_progress 1
		.amdhsa_inst_pref_size 13
		.amdhsa_round_robin_scheduling 0
		.amdhsa_exception_fp_ieee_invalid_op 0
		.amdhsa_exception_fp_denorm_src 0
		.amdhsa_exception_fp_ieee_div_zero 0
		.amdhsa_exception_fp_ieee_overflow 0
		.amdhsa_exception_fp_ieee_underflow 0
		.amdhsa_exception_fp_ieee_inexact 0
		.amdhsa_exception_int_div_zero 0
	.end_amdhsa_kernel
	.section	.text._ZN9rocsolver6v33100L41conj_nonunit_backward_substitution_kernelI19rocblas_complex_numIdElPS3_EEvT0_S5_T1_S5_S5_llS6_S5_S5_ll,"axG",@progbits,_ZN9rocsolver6v33100L41conj_nonunit_backward_substitution_kernelI19rocblas_complex_numIdElPS3_EEvT0_S5_T1_S5_S5_llS6_S5_S5_ll,comdat
.Lfunc_end21:
	.size	_ZN9rocsolver6v33100L41conj_nonunit_backward_substitution_kernelI19rocblas_complex_numIdElPS3_EEvT0_S5_T1_S5_S5_llS6_S5_S5_ll, .Lfunc_end21-_ZN9rocsolver6v33100L41conj_nonunit_backward_substitution_kernelI19rocblas_complex_numIdElPS3_EEvT0_S5_T1_S5_S5_llS6_S5_S5_ll
                                        ; -- End function
	.set _ZN9rocsolver6v33100L41conj_nonunit_backward_substitution_kernelI19rocblas_complex_numIdElPS3_EEvT0_S5_T1_S5_S5_llS6_S5_S5_ll.num_vgpr, 26
	.set _ZN9rocsolver6v33100L41conj_nonunit_backward_substitution_kernelI19rocblas_complex_numIdElPS3_EEvT0_S5_T1_S5_S5_llS6_S5_S5_ll.num_agpr, 0
	.set _ZN9rocsolver6v33100L41conj_nonunit_backward_substitution_kernelI19rocblas_complex_numIdElPS3_EEvT0_S5_T1_S5_S5_llS6_S5_S5_ll.numbered_sgpr, 28
	.set _ZN9rocsolver6v33100L41conj_nonunit_backward_substitution_kernelI19rocblas_complex_numIdElPS3_EEvT0_S5_T1_S5_S5_llS6_S5_S5_ll.num_named_barrier, 0
	.set _ZN9rocsolver6v33100L41conj_nonunit_backward_substitution_kernelI19rocblas_complex_numIdElPS3_EEvT0_S5_T1_S5_S5_llS6_S5_S5_ll.private_seg_size, 0
	.set _ZN9rocsolver6v33100L41conj_nonunit_backward_substitution_kernelI19rocblas_complex_numIdElPS3_EEvT0_S5_T1_S5_S5_llS6_S5_S5_ll.uses_vcc, 1
	.set _ZN9rocsolver6v33100L41conj_nonunit_backward_substitution_kernelI19rocblas_complex_numIdElPS3_EEvT0_S5_T1_S5_S5_llS6_S5_S5_ll.uses_flat_scratch, 0
	.set _ZN9rocsolver6v33100L41conj_nonunit_backward_substitution_kernelI19rocblas_complex_numIdElPS3_EEvT0_S5_T1_S5_S5_llS6_S5_S5_ll.has_dyn_sized_stack, 0
	.set _ZN9rocsolver6v33100L41conj_nonunit_backward_substitution_kernelI19rocblas_complex_numIdElPS3_EEvT0_S5_T1_S5_S5_llS6_S5_S5_ll.has_recursion, 0
	.set _ZN9rocsolver6v33100L41conj_nonunit_backward_substitution_kernelI19rocblas_complex_numIdElPS3_EEvT0_S5_T1_S5_S5_llS6_S5_S5_ll.has_indirect_call, 0
	.section	.AMDGPU.csdata,"",@progbits
; Kernel info:
; codeLenInByte = 1644
; TotalNumSgprs: 30
; NumVgprs: 26
; ScratchSize: 0
; MemoryBound: 1
; FloatMode: 240
; IeeeMode: 1
; LDSByteSize: 0 bytes/workgroup (compile time only)
; SGPRBlocks: 0
; VGPRBlocks: 1
; NumSGPRsForWavesPerEU: 30
; NumVGPRsForWavesPerEU: 26
; NamedBarCnt: 0
; Occupancy: 16
; WaveLimiterHint : 0
; COMPUTE_PGM_RSRC2:SCRATCH_EN: 0
; COMPUTE_PGM_RSRC2:USER_SGPR: 2
; COMPUTE_PGM_RSRC2:TRAP_HANDLER: 0
; COMPUTE_PGM_RSRC2:TGID_X_EN: 1
; COMPUTE_PGM_RSRC2:TGID_Y_EN: 1
; COMPUTE_PGM_RSRC2:TGID_Z_EN: 1
; COMPUTE_PGM_RSRC2:TIDIG_COMP_CNT: 1
	.section	.text._ZN9rocsolver6v33100L33unit_backward_substitution_kernelI19rocblas_complex_numIdElPS3_EEvT0_S5_T1_S5_S5_llS6_S5_S5_ll,"axG",@progbits,_ZN9rocsolver6v33100L33unit_backward_substitution_kernelI19rocblas_complex_numIdElPS3_EEvT0_S5_T1_S5_S5_llS6_S5_S5_ll,comdat
	.globl	_ZN9rocsolver6v33100L33unit_backward_substitution_kernelI19rocblas_complex_numIdElPS3_EEvT0_S5_T1_S5_S5_llS6_S5_S5_ll ; -- Begin function _ZN9rocsolver6v33100L33unit_backward_substitution_kernelI19rocblas_complex_numIdElPS3_EEvT0_S5_T1_S5_S5_llS6_S5_S5_ll
	.p2align	8
	.type	_ZN9rocsolver6v33100L33unit_backward_substitution_kernelI19rocblas_complex_numIdElPS3_EEvT0_S5_T1_S5_S5_llS6_S5_S5_ll,@function
_ZN9rocsolver6v33100L33unit_backward_substitution_kernelI19rocblas_complex_numIdElPS3_EEvT0_S5_T1_S5_S5_llS6_S5_S5_ll: ; @_ZN9rocsolver6v33100L33unit_backward_substitution_kernelI19rocblas_complex_numIdElPS3_EEvT0_S5_T1_S5_S5_llS6_S5_S5_ll
; %bb.0:
	s_clause 0x1
	s_load_u16 s3, s[0:1], 0x6e
	s_load_b512 s[4:19], s[0:1], 0x0
	s_bfe_u32 s2, ttmp6, 0x40010
	v_mov_b32_e32 v5, 0
	s_and_b32 s20, ttmp7, 0xffff
	s_add_co_i32 s2, s2, 1
	s_bfe_u32 s22, ttmp6, 0x40004
	s_mul_i32 s21, s20, s2
	s_getreg_b32 s2, hwreg(HW_REG_IB_STS2, 6, 4)
	v_bfe_u32 v8, v0, 10, 10
	v_mov_b32_e32 v9, v5
	s_add_co_i32 s22, s22, s21
	s_cmp_eq_u32 s2, 0
	s_cselect_b32 s20, s20, s22
	s_wait_kmcnt 0x0
	v_mad_nc_u64_u32 v[2:3], s3, s20, v[8:9]
	s_mov_b32 s3, 0
	s_delay_alu instid0(VALU_DEP_1)
	v_cmp_gt_i64_e32 vcc_lo, s[6:7], v[2:3]
	s_and_saveexec_b32 s6, vcc_lo
	s_cbranch_execz .LBB22_9
; %bb.1:
	s_load_b256 s[20:27], s[0:1], 0x40
	v_and_b32_e32 v4, 0x3ff, v0
	s_wait_xcnt 0x0
	s_bfe_u32 s0, ttmp6, 0x40014
	s_lshr_b32 s1, ttmp7, 16
	s_add_co_i32 s0, s0, 1
	s_bfe_u32 s6, ttmp6, 0x40008
	s_mul_i32 s0, s1, s0
	s_delay_alu instid0(SALU_CYCLE_1)
	s_add_co_i32 s6, s6, s0
	s_cmp_eq_u32 s2, 0
	s_cselect_b32 s2, s1, s6
	s_wait_kmcnt 0x0
	v_mul_u64_e32 v[0:1], s[20:21], v[4:5]
	v_mul_u64_e32 v[2:3], s[22:23], v[2:3]
	s_mul_u64 s[0:1], s[26:27], s[2:3]
	s_lshl_b64 s[6:7], s[24:25], 4
	s_lshl_b64 s[0:1], s[0:1], 4
	s_delay_alu instid0(SALU_CYCLE_1) | instskip(NEXT) | instid1(SALU_CYCLE_1)
	s_add_nc_u64 s[0:1], s[18:19], s[0:1]
	s_add_nc_u64 s[0:1], s[0:1], s[6:7]
	s_delay_alu instid0(VALU_DEP_2) | instid1(SALU_CYCLE_1)
	v_lshl_add_u64 v[0:1], v[0:1], 4, s[0:1]
	v_cmp_lt_i64_e64 s0, s[4:5], 2
	s_delay_alu instid0(VALU_DEP_2)
	v_lshl_add_u64 v[6:7], v[2:3], 4, v[0:1]
	s_and_b32 vcc_lo, exec_lo, s0
	global_load_b128 v[0:3], v[6:7], off
	s_cbranch_vccnz .LBB22_8
; %bb.2:
	v_mul_u64_e32 v[10:11], s[10:11], v[4:5]
	s_add_nc_u64 s[0:1], s[4:5], -1
	s_mul_u64 s[2:3], s[16:17], s[2:3]
	s_mul_u64 s[4:5], s[12:13], s[0:1]
	s_lshl_b64 s[2:3], s[2:3], 4
	s_lshl_b64 s[4:5], s[4:5], 4
	;; [unrolled: 1-line block ×3, first 2 shown]
	s_add_nc_u64 s[2:3], s[4:5], s[2:3]
	s_add_nc_u64 s[4:5], s[8:9], s[6:7]
	v_lshl_add_u32 v14, v8, 4, 0
	s_add_nc_u64 s[2:3], s[4:5], s[2:3]
	s_delay_alu instid0(VALU_DEP_2) | instid1(SALU_CYCLE_1)
	v_lshl_add_u64 v[10:11], v[10:11], 4, s[2:3]
	s_lshl_b64 s[2:3], s[12:13], 4
	s_delay_alu instid0(SALU_CYCLE_1) | instskip(NEXT) | instid1(VALU_DEP_1)
	s_sub_nc_u64 s[2:3], 0, s[2:3]
	v_add_nc_u64_e32 v[10:11], 8, v[10:11]
	s_branch .LBB22_4
.LBB22_3:                               ;   in Loop: Header=BB22_4 Depth=1
	s_or_b32 exec_lo, exec_lo, s4
	s_delay_alu instid0(VALU_DEP_2) | instskip(NEXT) | instid1(VALU_DEP_2)
	v_add_f64_e64 v[0:1], v[0:1], -v[12:13]
	v_add_f64_e64 v[2:3], v[2:3], -v[8:9]
	s_add_nc_u64 s[4:5], s[0:1], 1
	v_add_nc_u64_e32 v[10:11], s[2:3], v[10:11]
	v_cmp_lt_u64_e64 s4, s[4:5], 3
	s_add_nc_u64 s[0:1], s[0:1], -1
	s_and_b32 vcc_lo, exec_lo, s4
	s_cbranch_vccnz .LBB22_8
.LBB22_4:                               ; =>This Inner Loop Header: Depth=1
	s_mov_b32 s4, exec_lo
	s_wait_loadcnt 0x0
	s_barrier_signal -1
	s_barrier_wait -1
	s_wait_xcnt 0x0
	v_cmpx_eq_u64_e64 s[0:1], v[4:5]
; %bb.5:                                ;   in Loop: Header=BB22_4 Depth=1
	ds_store_2addr_b64 v14, v[0:1], v[2:3] offset1:1
; %bb.6:                                ;   in Loop: Header=BB22_4 Depth=1
	s_or_b32 exec_lo, exec_lo, s4
	v_mov_b64_e32 v[8:9], 0
	v_mov_b64_e32 v[12:13], 0
	s_mov_b32 s4, exec_lo
	s_wait_dscnt 0x0
	s_barrier_signal -1
	s_barrier_wait -1
	v_cmpx_gt_i64_e64 s[0:1], v[4:5]
	s_cbranch_execz .LBB22_3
; %bb.7:                                ;   in Loop: Header=BB22_4 Depth=1
	global_load_b128 v[16:19], v[10:11], off offset:-8
	ds_load_2addr_b64 v[20:23], v14 offset1:1
	s_wait_loadcnt_dscnt 0x0
	v_mul_f64_e32 v[12:13], v[22:23], v[18:19]
	v_mul_f64_e32 v[8:9], v[20:21], v[18:19]
	s_delay_alu instid0(VALU_DEP_2) | instskip(NEXT) | instid1(VALU_DEP_2)
	v_fma_f64 v[12:13], v[20:21], v[16:17], -v[12:13]
	v_fmac_f64_e32 v[8:9], v[22:23], v[16:17]
	s_branch .LBB22_3
.LBB22_8:
	s_wait_loadcnt 0x0
	global_store_b128 v[6:7], v[0:3], off
.LBB22_9:
	s_endpgm
	.section	.rodata,"a",@progbits
	.p2align	6, 0x0
	.amdhsa_kernel _ZN9rocsolver6v33100L33unit_backward_substitution_kernelI19rocblas_complex_numIdElPS3_EEvT0_S5_T1_S5_S5_llS6_S5_S5_ll
		.amdhsa_group_segment_fixed_size 0
		.amdhsa_private_segment_fixed_size 0
		.amdhsa_kernarg_size 352
		.amdhsa_user_sgpr_count 2
		.amdhsa_user_sgpr_dispatch_ptr 0
		.amdhsa_user_sgpr_queue_ptr 0
		.amdhsa_user_sgpr_kernarg_segment_ptr 1
		.amdhsa_user_sgpr_dispatch_id 0
		.amdhsa_user_sgpr_kernarg_preload_length 0
		.amdhsa_user_sgpr_kernarg_preload_offset 0
		.amdhsa_user_sgpr_private_segment_size 0
		.amdhsa_wavefront_size32 1
		.amdhsa_uses_dynamic_stack 0
		.amdhsa_enable_private_segment 0
		.amdhsa_system_sgpr_workgroup_id_x 1
		.amdhsa_system_sgpr_workgroup_id_y 1
		.amdhsa_system_sgpr_workgroup_id_z 1
		.amdhsa_system_sgpr_workgroup_info 0
		.amdhsa_system_vgpr_workitem_id 1
		.amdhsa_next_free_vgpr 24
		.amdhsa_next_free_sgpr 28
		.amdhsa_named_barrier_count 0
		.amdhsa_reserve_vcc 1
		.amdhsa_float_round_mode_32 0
		.amdhsa_float_round_mode_16_64 0
		.amdhsa_float_denorm_mode_32 3
		.amdhsa_float_denorm_mode_16_64 3
		.amdhsa_fp16_overflow 0
		.amdhsa_memory_ordered 1
		.amdhsa_forward_progress 1
		.amdhsa_inst_pref_size 5
		.amdhsa_round_robin_scheduling 0
		.amdhsa_exception_fp_ieee_invalid_op 0
		.amdhsa_exception_fp_denorm_src 0
		.amdhsa_exception_fp_ieee_div_zero 0
		.amdhsa_exception_fp_ieee_overflow 0
		.amdhsa_exception_fp_ieee_underflow 0
		.amdhsa_exception_fp_ieee_inexact 0
		.amdhsa_exception_int_div_zero 0
	.end_amdhsa_kernel
	.section	.text._ZN9rocsolver6v33100L33unit_backward_substitution_kernelI19rocblas_complex_numIdElPS3_EEvT0_S5_T1_S5_S5_llS6_S5_S5_ll,"axG",@progbits,_ZN9rocsolver6v33100L33unit_backward_substitution_kernelI19rocblas_complex_numIdElPS3_EEvT0_S5_T1_S5_S5_llS6_S5_S5_ll,comdat
.Lfunc_end22:
	.size	_ZN9rocsolver6v33100L33unit_backward_substitution_kernelI19rocblas_complex_numIdElPS3_EEvT0_S5_T1_S5_S5_llS6_S5_S5_ll, .Lfunc_end22-_ZN9rocsolver6v33100L33unit_backward_substitution_kernelI19rocblas_complex_numIdElPS3_EEvT0_S5_T1_S5_S5_llS6_S5_S5_ll
                                        ; -- End function
	.set _ZN9rocsolver6v33100L33unit_backward_substitution_kernelI19rocblas_complex_numIdElPS3_EEvT0_S5_T1_S5_S5_llS6_S5_S5_ll.num_vgpr, 24
	.set _ZN9rocsolver6v33100L33unit_backward_substitution_kernelI19rocblas_complex_numIdElPS3_EEvT0_S5_T1_S5_S5_llS6_S5_S5_ll.num_agpr, 0
	.set _ZN9rocsolver6v33100L33unit_backward_substitution_kernelI19rocblas_complex_numIdElPS3_EEvT0_S5_T1_S5_S5_llS6_S5_S5_ll.numbered_sgpr, 28
	.set _ZN9rocsolver6v33100L33unit_backward_substitution_kernelI19rocblas_complex_numIdElPS3_EEvT0_S5_T1_S5_S5_llS6_S5_S5_ll.num_named_barrier, 0
	.set _ZN9rocsolver6v33100L33unit_backward_substitution_kernelI19rocblas_complex_numIdElPS3_EEvT0_S5_T1_S5_S5_llS6_S5_S5_ll.private_seg_size, 0
	.set _ZN9rocsolver6v33100L33unit_backward_substitution_kernelI19rocblas_complex_numIdElPS3_EEvT0_S5_T1_S5_S5_llS6_S5_S5_ll.uses_vcc, 1
	.set _ZN9rocsolver6v33100L33unit_backward_substitution_kernelI19rocblas_complex_numIdElPS3_EEvT0_S5_T1_S5_S5_llS6_S5_S5_ll.uses_flat_scratch, 0
	.set _ZN9rocsolver6v33100L33unit_backward_substitution_kernelI19rocblas_complex_numIdElPS3_EEvT0_S5_T1_S5_S5_llS6_S5_S5_ll.has_dyn_sized_stack, 0
	.set _ZN9rocsolver6v33100L33unit_backward_substitution_kernelI19rocblas_complex_numIdElPS3_EEvT0_S5_T1_S5_S5_llS6_S5_S5_ll.has_recursion, 0
	.set _ZN9rocsolver6v33100L33unit_backward_substitution_kernelI19rocblas_complex_numIdElPS3_EEvT0_S5_T1_S5_S5_llS6_S5_S5_ll.has_indirect_call, 0
	.section	.AMDGPU.csdata,"",@progbits
; Kernel info:
; codeLenInByte = 548
; TotalNumSgprs: 30
; NumVgprs: 24
; ScratchSize: 0
; MemoryBound: 0
; FloatMode: 240
; IeeeMode: 1
; LDSByteSize: 0 bytes/workgroup (compile time only)
; SGPRBlocks: 0
; VGPRBlocks: 1
; NumSGPRsForWavesPerEU: 30
; NumVGPRsForWavesPerEU: 24
; NamedBarCnt: 0
; Occupancy: 16
; WaveLimiterHint : 0
; COMPUTE_PGM_RSRC2:SCRATCH_EN: 0
; COMPUTE_PGM_RSRC2:USER_SGPR: 2
; COMPUTE_PGM_RSRC2:TRAP_HANDLER: 0
; COMPUTE_PGM_RSRC2:TGID_X_EN: 1
; COMPUTE_PGM_RSRC2:TGID_Y_EN: 1
; COMPUTE_PGM_RSRC2:TGID_Z_EN: 1
; COMPUTE_PGM_RSRC2:TIDIG_COMP_CNT: 1
	.section	.text._ZN9rocsolver6v33100L36nonunit_backward_substitution_kernelI19rocblas_complex_numIdElPS3_EEvT0_S5_T1_S5_S5_llS6_S5_S5_ll,"axG",@progbits,_ZN9rocsolver6v33100L36nonunit_backward_substitution_kernelI19rocblas_complex_numIdElPS3_EEvT0_S5_T1_S5_S5_llS6_S5_S5_ll,comdat
	.globl	_ZN9rocsolver6v33100L36nonunit_backward_substitution_kernelI19rocblas_complex_numIdElPS3_EEvT0_S5_T1_S5_S5_llS6_S5_S5_ll ; -- Begin function _ZN9rocsolver6v33100L36nonunit_backward_substitution_kernelI19rocblas_complex_numIdElPS3_EEvT0_S5_T1_S5_S5_llS6_S5_S5_ll
	.p2align	8
	.type	_ZN9rocsolver6v33100L36nonunit_backward_substitution_kernelI19rocblas_complex_numIdElPS3_EEvT0_S5_T1_S5_S5_llS6_S5_S5_ll,@function
_ZN9rocsolver6v33100L36nonunit_backward_substitution_kernelI19rocblas_complex_numIdElPS3_EEvT0_S5_T1_S5_S5_llS6_S5_S5_ll: ; @_ZN9rocsolver6v33100L36nonunit_backward_substitution_kernelI19rocblas_complex_numIdElPS3_EEvT0_S5_T1_S5_S5_llS6_S5_S5_ll
; %bb.0:
	s_clause 0x1
	s_load_u16 s3, s[0:1], 0x6e
	s_load_b512 s[4:19], s[0:1], 0x0
	s_bfe_u32 s2, ttmp6, 0x40010
	v_mov_b32_e32 v11, 0
	s_and_b32 s20, ttmp7, 0xffff
	s_add_co_i32 s2, s2, 1
	s_bfe_u32 s22, ttmp6, 0x40004
	s_mul_i32 s21, s20, s2
	s_getreg_b32 s2, hwreg(HW_REG_IB_STS2, 6, 4)
	v_bfe_u32 v4, v0, 10, 10
	v_mov_b32_e32 v5, v11
	s_add_co_i32 s22, s22, s21
	s_cmp_eq_u32 s2, 0
	s_cselect_b32 s20, s20, s22
	s_wait_kmcnt 0x0
	v_mad_nc_u64_u32 v[2:3], s3, s20, v[4:5]
	s_mov_b32 s3, 0
	s_delay_alu instid0(VALU_DEP_1)
	v_cmp_gt_i64_e32 vcc_lo, s[6:7], v[2:3]
	s_and_saveexec_b32 s6, vcc_lo
	s_cbranch_execz .LBB23_19
; %bb.1:
	s_load_b256 s[20:27], s[0:1], 0x40
	v_and_b32_e32 v10, 0x3ff, v0
	s_wait_xcnt 0x0
	s_bfe_u32 s0, ttmp6, 0x40014
	s_lshr_b32 s1, ttmp7, 16
	s_add_co_i32 s0, s0, 1
	s_bfe_u32 s6, ttmp6, 0x40008
	s_mul_i32 s0, s1, s0
	s_delay_alu instid0(SALU_CYCLE_1)
	s_add_co_i32 s6, s6, s0
	s_cmp_eq_u32 s2, 0
	s_cselect_b32 s2, s1, s6
	s_lshl_b64 s[14:15], s[14:15], 4
	s_wait_kmcnt 0x0
	v_mul_u64_e32 v[0:1], s[20:21], v[10:11]
	v_mul_u64_e32 v[2:3], s[22:23], v[2:3]
	s_mul_u64 s[0:1], s[26:27], s[2:3]
	s_lshl_b64 s[6:7], s[24:25], 4
	s_lshl_b64 s[0:1], s[0:1], 4
	s_delay_alu instid0(SALU_CYCLE_1) | instskip(NEXT) | instid1(SALU_CYCLE_1)
	s_add_nc_u64 s[0:1], s[18:19], s[0:1]
	s_add_nc_u64 s[0:1], s[0:1], s[6:7]
	v_cmp_lt_i64_e64 s6, s[4:5], 2
	s_and_b32 vcc_lo, exec_lo, s6
	v_lshl_add_u64 v[0:1], v[0:1], 4, s[0:1]
	s_mul_u64 s[0:1], s[16:17], s[2:3]
	s_delay_alu instid0(SALU_CYCLE_1) | instskip(NEXT) | instid1(SALU_CYCLE_1)
	s_lshl_b64 s[2:3], s[0:1], 4
	s_add_nc_u64 s[0:1], s[8:9], s[2:3]
	s_delay_alu instid0(VALU_DEP_1)
	v_lshl_add_u64 v[8:9], v[2:3], 4, v[0:1]
	s_add_nc_u64 s[6:7], s[0:1], s[14:15]
	global_load_b128 v[0:3], v[8:9], off
	s_cbranch_vccnz .LBB23_12
; %bb.2:
	v_mul_u64_e32 v[6:7], s[10:11], v[10:11]
	s_add_nc_u64 s[0:1], s[12:13], s[10:11]
	v_lshl_add_u32 v16, v4, 4, 0
	v_mul_u64_e32 v[14:15], s[0:1], v[10:11]
	s_add_nc_u64 s[0:1], s[4:5], -1
	s_delay_alu instid0(SALU_CYCLE_1) | instskip(NEXT) | instid1(SALU_CYCLE_1)
	s_mul_u64 s[4:5], s[12:13], s[0:1]
	s_lshl_b64 s[4:5], s[4:5], 4
	s_delay_alu instid0(SALU_CYCLE_1) | instskip(SKIP_1) | instid1(SALU_CYCLE_1)
	s_add_nc_u64 s[2:3], s[4:5], s[2:3]
	s_add_nc_u64 s[4:5], s[8:9], s[14:15]
	;; [unrolled: 1-line block ×3, first 2 shown]
	s_delay_alu instid0(VALU_DEP_3) | instid1(SALU_CYCLE_1)
	v_lshl_add_u64 v[6:7], v[6:7], 4, s[2:3]
	s_lshl_b64 s[2:3], s[12:13], 4
	s_delay_alu instid0(VALU_DEP_2) | instskip(SKIP_1) | instid1(VALU_DEP_2)
	v_lshl_add_u64 v[14:15], v[14:15], 4, s[6:7]
	s_sub_nc_u64 s[2:3], 0, s[2:3]
	v_add_nc_u64_e32 v[12:13], 8, v[6:7]
	s_branch .LBB23_4
.LBB23_3:                               ;   in Loop: Header=BB23_4 Depth=1
	s_or_b32 exec_lo, exec_lo, s4
	s_delay_alu instid0(VALU_DEP_2) | instskip(NEXT) | instid1(VALU_DEP_2)
	v_add_f64_e64 v[0:1], v[0:1], -v[6:7]
	v_add_f64_e64 v[2:3], v[2:3], -v[4:5]
	s_add_nc_u64 s[4:5], s[0:1], 1
	v_add_nc_u64_e32 v[12:13], s[2:3], v[12:13]
	v_cmp_lt_u64_e64 s4, s[4:5], 3
	s_add_nc_u64 s[0:1], s[0:1], -1
	s_and_b32 vcc_lo, exec_lo, s4
	s_cbranch_vccnz .LBB23_12
.LBB23_4:                               ; =>This Inner Loop Header: Depth=1
	s_mov_b32 s4, exec_lo
	s_wait_loadcnt 0x0
	s_barrier_signal -1
	s_barrier_wait -1
	s_wait_xcnt 0x0
	v_cmpx_eq_u64_e64 s[0:1], v[10:11]
	s_cbranch_execz .LBB23_10
; %bb.5:                                ;   in Loop: Header=BB23_4 Depth=1
	global_load_b128 v[4:7], v[14:15], off
	s_wait_loadcnt 0x0
	v_cmp_ngt_f64_e64 s5, |v[4:5]|, |v[6:7]|
	s_and_saveexec_b32 s8, s5
	s_delay_alu instid0(SALU_CYCLE_1)
	s_xor_b32 s5, exec_lo, s8
	s_cbranch_execz .LBB23_7
; %bb.6:                                ;   in Loop: Header=BB23_4 Depth=1
	v_div_scale_f64 v[18:19], null, v[6:7], v[6:7], v[4:5]
	v_div_scale_f64 v[24:25], vcc_lo, v[4:5], v[6:7], v[4:5]
	s_delay_alu instid0(VALU_DEP_2) | instskip(SKIP_1) | instid1(TRANS32_DEP_1)
	v_rcp_f64_e32 v[20:21], v[18:19]
	v_nop
	v_fma_f64 v[22:23], -v[18:19], v[20:21], 1.0
	s_delay_alu instid0(VALU_DEP_1) | instskip(NEXT) | instid1(VALU_DEP_1)
	v_fmac_f64_e32 v[20:21], v[20:21], v[22:23]
	v_fma_f64 v[22:23], -v[18:19], v[20:21], 1.0
	s_delay_alu instid0(VALU_DEP_1) | instskip(NEXT) | instid1(VALU_DEP_1)
	v_fmac_f64_e32 v[20:21], v[20:21], v[22:23]
	v_mul_f64_e32 v[22:23], v[24:25], v[20:21]
	s_delay_alu instid0(VALU_DEP_1) | instskip(NEXT) | instid1(VALU_DEP_1)
	v_fma_f64 v[18:19], -v[18:19], v[22:23], v[24:25]
	v_div_fmas_f64 v[18:19], v[18:19], v[20:21], v[22:23]
	s_delay_alu instid0(VALU_DEP_1) | instskip(NEXT) | instid1(VALU_DEP_1)
	v_div_fixup_f64 v[18:19], v[18:19], v[6:7], v[4:5]
	v_fmac_f64_e32 v[6:7], v[4:5], v[18:19]
	s_delay_alu instid0(VALU_DEP_1) | instskip(SKIP_1) | instid1(VALU_DEP_2)
	v_div_scale_f64 v[4:5], null, v[6:7], v[6:7], 1.0
	v_div_scale_f64 v[24:25], vcc_lo, 1.0, v[6:7], 1.0
	v_rcp_f64_e32 v[20:21], v[4:5]
	v_nop
	s_delay_alu instid0(TRANS32_DEP_1) | instskip(NEXT) | instid1(VALU_DEP_1)
	v_fma_f64 v[22:23], -v[4:5], v[20:21], 1.0
	v_fmac_f64_e32 v[20:21], v[20:21], v[22:23]
	s_delay_alu instid0(VALU_DEP_1) | instskip(NEXT) | instid1(VALU_DEP_1)
	v_fma_f64 v[22:23], -v[4:5], v[20:21], 1.0
	v_fmac_f64_e32 v[20:21], v[20:21], v[22:23]
	s_delay_alu instid0(VALU_DEP_1) | instskip(NEXT) | instid1(VALU_DEP_1)
	v_mul_f64_e32 v[22:23], v[24:25], v[20:21]
	v_fma_f64 v[4:5], -v[4:5], v[22:23], v[24:25]
	s_delay_alu instid0(VALU_DEP_1) | instskip(NEXT) | instid1(VALU_DEP_1)
	v_div_fmas_f64 v[4:5], v[4:5], v[20:21], v[22:23]
	v_div_fixup_f64 v[4:5], v[4:5], v[6:7], 1.0
	v_fma_f64 v[6:7], v[0:1], v[18:19], v[2:3]
	v_fma_f64 v[0:1], v[2:3], v[18:19], -v[0:1]
	s_delay_alu instid0(VALU_DEP_2) | instskip(NEXT) | instid1(VALU_DEP_2)
	v_mul_f64_e32 v[6:7], v[6:7], v[4:5]
	v_mul_f64_e32 v[2:3], v[0:1], v[4:5]
	s_delay_alu instid0(VALU_DEP_2)
	v_mov_b64_e32 v[0:1], v[6:7]
                                        ; implicit-def: $vgpr4_vgpr5
.LBB23_7:                               ;   in Loop: Header=BB23_4 Depth=1
	s_and_not1_saveexec_b32 s5, s5
	s_cbranch_execz .LBB23_9
; %bb.8:                                ;   in Loop: Header=BB23_4 Depth=1
	v_div_scale_f64 v[18:19], null, v[4:5], v[4:5], v[6:7]
	v_div_scale_f64 v[24:25], vcc_lo, v[6:7], v[4:5], v[6:7]
	s_delay_alu instid0(VALU_DEP_2) | instskip(SKIP_1) | instid1(TRANS32_DEP_1)
	v_rcp_f64_e32 v[20:21], v[18:19]
	v_nop
	v_fma_f64 v[22:23], -v[18:19], v[20:21], 1.0
	s_delay_alu instid0(VALU_DEP_1) | instskip(NEXT) | instid1(VALU_DEP_1)
	v_fmac_f64_e32 v[20:21], v[20:21], v[22:23]
	v_fma_f64 v[22:23], -v[18:19], v[20:21], 1.0
	s_delay_alu instid0(VALU_DEP_1) | instskip(NEXT) | instid1(VALU_DEP_1)
	v_fmac_f64_e32 v[20:21], v[20:21], v[22:23]
	v_mul_f64_e32 v[22:23], v[24:25], v[20:21]
	s_delay_alu instid0(VALU_DEP_1) | instskip(NEXT) | instid1(VALU_DEP_1)
	v_fma_f64 v[18:19], -v[18:19], v[22:23], v[24:25]
	v_div_fmas_f64 v[18:19], v[18:19], v[20:21], v[22:23]
	s_delay_alu instid0(VALU_DEP_1) | instskip(NEXT) | instid1(VALU_DEP_1)
	v_div_fixup_f64 v[18:19], v[18:19], v[4:5], v[6:7]
	v_fmac_f64_e32 v[4:5], v[6:7], v[18:19]
	s_delay_alu instid0(VALU_DEP_1) | instskip(SKIP_1) | instid1(VALU_DEP_2)
	v_div_scale_f64 v[6:7], null, v[4:5], v[4:5], 1.0
	v_div_scale_f64 v[24:25], vcc_lo, 1.0, v[4:5], 1.0
	v_rcp_f64_e32 v[20:21], v[6:7]
	v_nop
	s_delay_alu instid0(TRANS32_DEP_1) | instskip(NEXT) | instid1(VALU_DEP_1)
	v_fma_f64 v[22:23], -v[6:7], v[20:21], 1.0
	v_fmac_f64_e32 v[20:21], v[20:21], v[22:23]
	s_delay_alu instid0(VALU_DEP_1) | instskip(NEXT) | instid1(VALU_DEP_1)
	v_fma_f64 v[22:23], -v[6:7], v[20:21], 1.0
	v_fmac_f64_e32 v[20:21], v[20:21], v[22:23]
	s_delay_alu instid0(VALU_DEP_1) | instskip(NEXT) | instid1(VALU_DEP_1)
	v_mul_f64_e32 v[22:23], v[24:25], v[20:21]
	v_fma_f64 v[6:7], -v[6:7], v[22:23], v[24:25]
	s_delay_alu instid0(VALU_DEP_1) | instskip(NEXT) | instid1(VALU_DEP_1)
	v_div_fmas_f64 v[6:7], v[6:7], v[20:21], v[22:23]
	v_div_fixup_f64 v[4:5], v[6:7], v[4:5], 1.0
	v_fma_f64 v[6:7], v[2:3], v[18:19], v[0:1]
	v_fma_f64 v[0:1], -v[0:1], v[18:19], v[2:3]
	s_delay_alu instid0(VALU_DEP_2) | instskip(NEXT) | instid1(VALU_DEP_2)
	v_mul_f64_e32 v[6:7], v[6:7], v[4:5]
	v_mul_f64_e32 v[2:3], v[0:1], v[4:5]
	s_delay_alu instid0(VALU_DEP_2)
	v_mov_b64_e32 v[0:1], v[6:7]
.LBB23_9:                               ;   in Loop: Header=BB23_4 Depth=1
	s_or_b32 exec_lo, exec_lo, s5
	ds_store_2addr_b64 v16, v[0:1], v[2:3] offset1:1
.LBB23_10:                              ;   in Loop: Header=BB23_4 Depth=1
	s_or_b32 exec_lo, exec_lo, s4
	v_mov_b64_e32 v[4:5], 0
	v_mov_b64_e32 v[6:7], 0
	s_mov_b32 s4, exec_lo
	s_wait_dscnt 0x0
	s_barrier_signal -1
	s_barrier_wait -1
	v_cmpx_gt_i64_e64 s[0:1], v[10:11]
	s_cbranch_execz .LBB23_3
; %bb.11:                               ;   in Loop: Header=BB23_4 Depth=1
	global_load_b128 v[18:21], v[12:13], off offset:-8
	ds_load_2addr_b64 v[22:25], v16 offset1:1
	s_wait_loadcnt_dscnt 0x0
	v_mul_f64_e32 v[6:7], v[24:25], v[20:21]
	v_mul_f64_e32 v[4:5], v[22:23], v[20:21]
	s_delay_alu instid0(VALU_DEP_2) | instskip(NEXT) | instid1(VALU_DEP_2)
	v_fma_f64 v[6:7], v[22:23], v[18:19], -v[6:7]
	v_fmac_f64_e32 v[4:5], v[24:25], v[18:19]
	s_branch .LBB23_3
.LBB23_12:
	s_mov_b32 s4, exec_lo
	s_wait_xcnt 0x0
	v_cmpx_eq_u32_e32 0, v10
	s_cbranch_execz .LBB23_18
; %bb.13:
	s_load_b128 s[0:3], s[6:7], 0x0
	s_wait_kmcnt 0x0
	v_cmp_ngt_f64_e64 s5, |s[0:1]|, |s[2:3]|
	s_and_b32 vcc_lo, exec_lo, s5
	s_cbranch_vccz .LBB23_15
; %bb.14:
	v_div_scale_f64 v[4:5], null, s[2:3], s[2:3], s[0:1]
	v_div_scale_f64 v[12:13], vcc_lo, s[0:1], s[2:3], s[0:1]
	s_delay_alu instid0(VALU_DEP_2) | instskip(SKIP_1) | instid1(TRANS32_DEP_1)
	v_rcp_f64_e32 v[6:7], v[4:5]
	v_nop
	v_fma_f64 v[10:11], -v[4:5], v[6:7], 1.0
	s_delay_alu instid0(VALU_DEP_1) | instskip(NEXT) | instid1(VALU_DEP_1)
	v_fmac_f64_e32 v[6:7], v[6:7], v[10:11]
	v_fma_f64 v[10:11], -v[4:5], v[6:7], 1.0
	s_delay_alu instid0(VALU_DEP_1) | instskip(NEXT) | instid1(VALU_DEP_1)
	v_fmac_f64_e32 v[6:7], v[6:7], v[10:11]
	v_mul_f64_e32 v[10:11], v[12:13], v[6:7]
	s_delay_alu instid0(VALU_DEP_1) | instskip(NEXT) | instid1(VALU_DEP_1)
	v_fma_f64 v[4:5], -v[4:5], v[10:11], v[12:13]
	v_div_fmas_f64 v[4:5], v[4:5], v[6:7], v[10:11]
	s_delay_alu instid0(VALU_DEP_1) | instskip(NEXT) | instid1(VALU_DEP_1)
	v_div_fixup_f64 v[4:5], v[4:5], s[2:3], s[0:1]
	v_fma_f64 v[6:7], s[0:1], v[4:5], s[2:3]
	s_delay_alu instid0(VALU_DEP_1) | instskip(SKIP_1) | instid1(VALU_DEP_2)
	v_div_scale_f64 v[10:11], null, v[6:7], v[6:7], 1.0
	v_div_scale_f64 v[16:17], vcc_lo, 1.0, v[6:7], 1.0
	v_rcp_f64_e32 v[12:13], v[10:11]
	v_nop
	s_delay_alu instid0(TRANS32_DEP_1) | instskip(NEXT) | instid1(VALU_DEP_1)
	v_fma_f64 v[14:15], -v[10:11], v[12:13], 1.0
	v_fmac_f64_e32 v[12:13], v[12:13], v[14:15]
	s_delay_alu instid0(VALU_DEP_1) | instskip(NEXT) | instid1(VALU_DEP_1)
	v_fma_f64 v[14:15], -v[10:11], v[12:13], 1.0
	v_fmac_f64_e32 v[12:13], v[12:13], v[14:15]
	s_delay_alu instid0(VALU_DEP_1) | instskip(NEXT) | instid1(VALU_DEP_1)
	v_mul_f64_e32 v[14:15], v[16:17], v[12:13]
	v_fma_f64 v[10:11], -v[10:11], v[14:15], v[16:17]
	s_delay_alu instid0(VALU_DEP_1) | instskip(SKIP_2) | instid1(VALU_DEP_2)
	v_div_fmas_f64 v[10:11], v[10:11], v[12:13], v[14:15]
	s_wait_loadcnt 0x0
	v_fma_f64 v[12:13], v[0:1], v[4:5], v[2:3]
	v_div_fixup_f64 v[6:7], v[10:11], v[6:7], 1.0
	v_fma_f64 v[10:11], v[2:3], v[4:5], -v[0:1]
	s_delay_alu instid0(VALU_DEP_2) | instskip(NEXT) | instid1(VALU_DEP_2)
	v_mul_f64_e32 v[4:5], v[12:13], v[6:7]
	v_mul_f64_e32 v[6:7], v[10:11], v[6:7]
	s_cbranch_execz .LBB23_16
	s_branch .LBB23_17
.LBB23_15:
                                        ; implicit-def: $vgpr4_vgpr5
                                        ; implicit-def: $vgpr6_vgpr7
.LBB23_16:
	v_div_scale_f64 v[4:5], null, s[0:1], s[0:1], s[2:3]
	v_div_scale_f64 v[12:13], vcc_lo, s[2:3], s[0:1], s[2:3]
	s_delay_alu instid0(VALU_DEP_2) | instskip(SKIP_1) | instid1(TRANS32_DEP_1)
	v_rcp_f64_e32 v[6:7], v[4:5]
	v_nop
	v_fma_f64 v[10:11], -v[4:5], v[6:7], 1.0
	s_delay_alu instid0(VALU_DEP_1) | instskip(NEXT) | instid1(VALU_DEP_1)
	v_fmac_f64_e32 v[6:7], v[6:7], v[10:11]
	v_fma_f64 v[10:11], -v[4:5], v[6:7], 1.0
	s_delay_alu instid0(VALU_DEP_1) | instskip(NEXT) | instid1(VALU_DEP_1)
	v_fmac_f64_e32 v[6:7], v[6:7], v[10:11]
	v_mul_f64_e32 v[10:11], v[12:13], v[6:7]
	s_delay_alu instid0(VALU_DEP_1) | instskip(NEXT) | instid1(VALU_DEP_1)
	v_fma_f64 v[4:5], -v[4:5], v[10:11], v[12:13]
	v_div_fmas_f64 v[4:5], v[4:5], v[6:7], v[10:11]
	s_delay_alu instid0(VALU_DEP_1) | instskip(NEXT) | instid1(VALU_DEP_1)
	v_div_fixup_f64 v[4:5], v[4:5], s[0:1], s[2:3]
	v_fma_f64 v[6:7], s[2:3], v[4:5], s[0:1]
	s_delay_alu instid0(VALU_DEP_1) | instskip(SKIP_1) | instid1(VALU_DEP_2)
	v_div_scale_f64 v[10:11], null, v[6:7], v[6:7], 1.0
	v_div_scale_f64 v[16:17], vcc_lo, 1.0, v[6:7], 1.0
	v_rcp_f64_e32 v[12:13], v[10:11]
	v_nop
	s_delay_alu instid0(TRANS32_DEP_1) | instskip(NEXT) | instid1(VALU_DEP_1)
	v_fma_f64 v[14:15], -v[10:11], v[12:13], 1.0
	v_fmac_f64_e32 v[12:13], v[12:13], v[14:15]
	s_delay_alu instid0(VALU_DEP_1) | instskip(NEXT) | instid1(VALU_DEP_1)
	v_fma_f64 v[14:15], -v[10:11], v[12:13], 1.0
	v_fmac_f64_e32 v[12:13], v[12:13], v[14:15]
	s_delay_alu instid0(VALU_DEP_1) | instskip(NEXT) | instid1(VALU_DEP_1)
	v_mul_f64_e32 v[14:15], v[16:17], v[12:13]
	v_fma_f64 v[10:11], -v[10:11], v[14:15], v[16:17]
	s_delay_alu instid0(VALU_DEP_1) | instskip(SKIP_3) | instid1(VALU_DEP_3)
	v_div_fmas_f64 v[10:11], v[10:11], v[12:13], v[14:15]
	s_wait_loadcnt 0x0
	v_fma_f64 v[12:13], v[2:3], v[4:5], v[0:1]
	v_fma_f64 v[0:1], -v[0:1], v[4:5], v[2:3]
	v_div_fixup_f64 v[6:7], v[10:11], v[6:7], 1.0
	s_delay_alu instid0(VALU_DEP_1) | instskip(NEXT) | instid1(VALU_DEP_3)
	v_mul_f64_e32 v[4:5], v[12:13], v[6:7]
	v_mul_f64_e32 v[6:7], v[0:1], v[6:7]
.LBB23_17:
	s_wait_loadcnt 0x0
	s_delay_alu instid0(VALU_DEP_1) | instskip(NEXT) | instid1(VALU_DEP_3)
	v_mov_b64_e32 v[2:3], v[6:7]
	v_mov_b64_e32 v[0:1], v[4:5]
.LBB23_18:
	s_or_b32 exec_lo, exec_lo, s4
	s_wait_loadcnt 0x0
	global_store_b128 v[8:9], v[0:3], off
.LBB23_19:
	s_endpgm
	.section	.rodata,"a",@progbits
	.p2align	6, 0x0
	.amdhsa_kernel _ZN9rocsolver6v33100L36nonunit_backward_substitution_kernelI19rocblas_complex_numIdElPS3_EEvT0_S5_T1_S5_S5_llS6_S5_S5_ll
		.amdhsa_group_segment_fixed_size 0
		.amdhsa_private_segment_fixed_size 0
		.amdhsa_kernarg_size 352
		.amdhsa_user_sgpr_count 2
		.amdhsa_user_sgpr_dispatch_ptr 0
		.amdhsa_user_sgpr_queue_ptr 0
		.amdhsa_user_sgpr_kernarg_segment_ptr 1
		.amdhsa_user_sgpr_dispatch_id 0
		.amdhsa_user_sgpr_kernarg_preload_length 0
		.amdhsa_user_sgpr_kernarg_preload_offset 0
		.amdhsa_user_sgpr_private_segment_size 0
		.amdhsa_wavefront_size32 1
		.amdhsa_uses_dynamic_stack 0
		.amdhsa_enable_private_segment 0
		.amdhsa_system_sgpr_workgroup_id_x 1
		.amdhsa_system_sgpr_workgroup_id_y 1
		.amdhsa_system_sgpr_workgroup_id_z 1
		.amdhsa_system_sgpr_workgroup_info 0
		.amdhsa_system_vgpr_workitem_id 1
		.amdhsa_next_free_vgpr 26
		.amdhsa_next_free_sgpr 28
		.amdhsa_named_barrier_count 0
		.amdhsa_reserve_vcc 1
		.amdhsa_float_round_mode_32 0
		.amdhsa_float_round_mode_16_64 0
		.amdhsa_float_denorm_mode_32 3
		.amdhsa_float_denorm_mode_16_64 3
		.amdhsa_fp16_overflow 0
		.amdhsa_memory_ordered 1
		.amdhsa_forward_progress 1
		.amdhsa_inst_pref_size 13
		.amdhsa_round_robin_scheduling 0
		.amdhsa_exception_fp_ieee_invalid_op 0
		.amdhsa_exception_fp_denorm_src 0
		.amdhsa_exception_fp_ieee_div_zero 0
		.amdhsa_exception_fp_ieee_overflow 0
		.amdhsa_exception_fp_ieee_underflow 0
		.amdhsa_exception_fp_ieee_inexact 0
		.amdhsa_exception_int_div_zero 0
	.end_amdhsa_kernel
	.section	.text._ZN9rocsolver6v33100L36nonunit_backward_substitution_kernelI19rocblas_complex_numIdElPS3_EEvT0_S5_T1_S5_S5_llS6_S5_S5_ll,"axG",@progbits,_ZN9rocsolver6v33100L36nonunit_backward_substitution_kernelI19rocblas_complex_numIdElPS3_EEvT0_S5_T1_S5_S5_llS6_S5_S5_ll,comdat
.Lfunc_end23:
	.size	_ZN9rocsolver6v33100L36nonunit_backward_substitution_kernelI19rocblas_complex_numIdElPS3_EEvT0_S5_T1_S5_S5_llS6_S5_S5_ll, .Lfunc_end23-_ZN9rocsolver6v33100L36nonunit_backward_substitution_kernelI19rocblas_complex_numIdElPS3_EEvT0_S5_T1_S5_S5_llS6_S5_S5_ll
                                        ; -- End function
	.set _ZN9rocsolver6v33100L36nonunit_backward_substitution_kernelI19rocblas_complex_numIdElPS3_EEvT0_S5_T1_S5_S5_llS6_S5_S5_ll.num_vgpr, 26
	.set _ZN9rocsolver6v33100L36nonunit_backward_substitution_kernelI19rocblas_complex_numIdElPS3_EEvT0_S5_T1_S5_S5_llS6_S5_S5_ll.num_agpr, 0
	.set _ZN9rocsolver6v33100L36nonunit_backward_substitution_kernelI19rocblas_complex_numIdElPS3_EEvT0_S5_T1_S5_S5_llS6_S5_S5_ll.numbered_sgpr, 28
	.set _ZN9rocsolver6v33100L36nonunit_backward_substitution_kernelI19rocblas_complex_numIdElPS3_EEvT0_S5_T1_S5_S5_llS6_S5_S5_ll.num_named_barrier, 0
	.set _ZN9rocsolver6v33100L36nonunit_backward_substitution_kernelI19rocblas_complex_numIdElPS3_EEvT0_S5_T1_S5_S5_llS6_S5_S5_ll.private_seg_size, 0
	.set _ZN9rocsolver6v33100L36nonunit_backward_substitution_kernelI19rocblas_complex_numIdElPS3_EEvT0_S5_T1_S5_S5_llS6_S5_S5_ll.uses_vcc, 1
	.set _ZN9rocsolver6v33100L36nonunit_backward_substitution_kernelI19rocblas_complex_numIdElPS3_EEvT0_S5_T1_S5_S5_llS6_S5_S5_ll.uses_flat_scratch, 0
	.set _ZN9rocsolver6v33100L36nonunit_backward_substitution_kernelI19rocblas_complex_numIdElPS3_EEvT0_S5_T1_S5_S5_llS6_S5_S5_ll.has_dyn_sized_stack, 0
	.set _ZN9rocsolver6v33100L36nonunit_backward_substitution_kernelI19rocblas_complex_numIdElPS3_EEvT0_S5_T1_S5_S5_llS6_S5_S5_ll.has_recursion, 0
	.set _ZN9rocsolver6v33100L36nonunit_backward_substitution_kernelI19rocblas_complex_numIdElPS3_EEvT0_S5_T1_S5_S5_llS6_S5_S5_ll.has_indirect_call, 0
	.section	.AMDGPU.csdata,"",@progbits
; Kernel info:
; codeLenInByte = 1636
; TotalNumSgprs: 30
; NumVgprs: 26
; ScratchSize: 0
; MemoryBound: 1
; FloatMode: 240
; IeeeMode: 1
; LDSByteSize: 0 bytes/workgroup (compile time only)
; SGPRBlocks: 0
; VGPRBlocks: 1
; NumSGPRsForWavesPerEU: 30
; NumVGPRsForWavesPerEU: 26
; NamedBarCnt: 0
; Occupancy: 16
; WaveLimiterHint : 0
; COMPUTE_PGM_RSRC2:SCRATCH_EN: 0
; COMPUTE_PGM_RSRC2:USER_SGPR: 2
; COMPUTE_PGM_RSRC2:TRAP_HANDLER: 0
; COMPUTE_PGM_RSRC2:TGID_X_EN: 1
; COMPUTE_PGM_RSRC2:TGID_Y_EN: 1
; COMPUTE_PGM_RSRC2:TGID_Z_EN: 1
; COMPUTE_PGM_RSRC2:TIDIG_COMP_CNT: 1
	.section	.text._ZN9rocsolver6v33100L37conj_unit_forward_substitution_kernelI19rocblas_complex_numIdElPKPS3_EEvT0_S7_T1_S7_S7_llS8_S7_S7_ll,"axG",@progbits,_ZN9rocsolver6v33100L37conj_unit_forward_substitution_kernelI19rocblas_complex_numIdElPKPS3_EEvT0_S7_T1_S7_S7_llS8_S7_S7_ll,comdat
	.globl	_ZN9rocsolver6v33100L37conj_unit_forward_substitution_kernelI19rocblas_complex_numIdElPKPS3_EEvT0_S7_T1_S7_S7_llS8_S7_S7_ll ; -- Begin function _ZN9rocsolver6v33100L37conj_unit_forward_substitution_kernelI19rocblas_complex_numIdElPKPS3_EEvT0_S7_T1_S7_S7_llS8_S7_S7_ll
	.p2align	8
	.type	_ZN9rocsolver6v33100L37conj_unit_forward_substitution_kernelI19rocblas_complex_numIdElPKPS3_EEvT0_S7_T1_S7_S7_llS8_S7_S7_ll,@function
_ZN9rocsolver6v33100L37conj_unit_forward_substitution_kernelI19rocblas_complex_numIdElPKPS3_EEvT0_S7_T1_S7_S7_llS8_S7_S7_ll: ; @_ZN9rocsolver6v33100L37conj_unit_forward_substitution_kernelI19rocblas_complex_numIdElPKPS3_EEvT0_S7_T1_S7_S7_llS8_S7_S7_ll
; %bb.0:
	s_clause 0x1
	s_load_u16 s3, s[0:1], 0x6e
	s_load_b256 s[4:11], s[0:1], 0x0
	s_bfe_u32 s2, ttmp6, 0x40010
	v_mov_b32_e32 v5, 0
	s_and_b32 s12, ttmp7, 0xffff
	s_add_co_i32 s2, s2, 1
	s_bfe_u32 s14, ttmp6, 0x40004
	s_mul_i32 s13, s12, s2
	s_getreg_b32 s2, hwreg(HW_REG_IB_STS2, 6, 4)
	v_bfe_u32 v8, v0, 10, 10
	v_mov_b32_e32 v9, v5
	s_add_co_i32 s14, s14, s13
	s_cmp_eq_u32 s2, 0
	s_cselect_b32 s12, s12, s14
	s_wait_kmcnt 0x0
	v_mad_nc_u64_u32 v[2:3], s3, s12, v[8:9]
	s_mov_b32 s3, exec_lo
	s_delay_alu instid0(VALU_DEP_1)
	v_cmpx_gt_i64_e64 s[6:7], v[2:3]
	s_cbranch_execz .LBB24_9
; %bb.1:
	s_load_b256 s[12:19], s[0:1], 0x38
	v_and_b32_e32 v4, 0x3ff, v0
	s_bfe_u32 s3, ttmp6, 0x40014
	s_lshr_b32 s6, ttmp7, 16
	s_add_co_i32 s3, s3, 1
	s_bfe_u32 s7, ttmp6, 0x40008
	s_mul_i32 s3, s6, s3
	s_delay_alu instid0(SALU_CYCLE_1)
	s_add_co_i32 s7, s7, s3
	s_cmp_eq_u32 s2, 0
	s_cselect_b32 s6, s6, s7
	v_cmp_lt_i64_e64 s7, s[4:5], 2
	s_and_b32 vcc_lo, exec_lo, s7
	s_wait_kmcnt 0x0
	v_mul_u64_e32 v[0:1], s[14:15], v[4:5]
	v_mul_u64_e32 v[2:3], s[16:17], v[2:3]
	s_load_b64 s[2:3], s[12:13], s6 offset:0x0 scale_offset
	s_wait_xcnt 0x0
	s_lshl_b64 s[12:13], s[18:19], 4
	s_wait_kmcnt 0x0
	s_add_nc_u64 s[2:3], s[2:3], s[12:13]
	s_delay_alu instid0(VALU_DEP_2) | instid1(SALU_CYCLE_1)
	v_lshl_add_u64 v[0:1], v[0:1], 4, s[2:3]
	s_load_b128 s[0:3], s[0:1], 0x20
	s_delay_alu instid0(VALU_DEP_1)
	v_lshl_add_u64 v[6:7], v[2:3], 4, v[0:1]
	flat_load_b128 v[0:3], v[6:7]
	s_cbranch_vccnz .LBB24_8
; %bb.2:
	v_mul_u64_e32 v[10:11], s[10:11], v[4:5]
	s_load_b64 s[6:7], s[8:9], s6 offset:0x0 scale_offset
	s_wait_kmcnt 0x0
	s_lshl_b64 s[2:3], s[2:3], 4
	v_lshl_add_u32 v14, v8, 4, 0
	s_lshl_b64 s[0:1], s[0:1], 4
	s_add_nc_u64 s[2:3], s[6:7], s[2:3]
	s_delay_alu instid0(VALU_DEP_2) | instid1(SALU_CYCLE_1)
	v_lshl_add_u64 v[10:11], v[10:11], 4, s[2:3]
	s_add_nc_u64 s[2:3], s[4:5], -1
	s_mov_b64 s[4:5], 0
	s_delay_alu instid0(VALU_DEP_1)
	v_add_nc_u64_e32 v[10:11], 8, v[10:11]
	s_branch .LBB24_4
.LBB24_3:                               ;   in Loop: Header=BB24_4 Depth=1
	s_or_b32 exec_lo, exec_lo, s6
	s_delay_alu instid0(VALU_DEP_2) | instskip(NEXT) | instid1(VALU_DEP_2)
	v_add_f64_e64 v[0:1], v[0:1], -v[8:9]
	v_add_f64_e64 v[2:3], v[2:3], -v[12:13]
	v_add_nc_u64_e32 v[10:11], s[0:1], v[10:11]
	s_add_nc_u64 s[4:5], s[4:5], 1
	s_delay_alu instid0(SALU_CYCLE_1)
	s_cmp_eq_u64 s[2:3], s[4:5]
	s_cbranch_scc1 .LBB24_8
.LBB24_4:                               ; =>This Inner Loop Header: Depth=1
	s_mov_b32 s6, exec_lo
	s_wait_loadcnt_dscnt 0x0
	s_barrier_signal -1
	s_barrier_wait -1
	v_cmpx_eq_u64_e64 s[4:5], v[4:5]
; %bb.5:                                ;   in Loop: Header=BB24_4 Depth=1
	ds_store_2addr_b64 v14, v[0:1], v[2:3] offset1:1
; %bb.6:                                ;   in Loop: Header=BB24_4 Depth=1
	s_or_b32 exec_lo, exec_lo, s6
	v_mov_b64_e32 v[12:13], 0
	v_mov_b64_e32 v[8:9], 0
	s_mov_b32 s6, exec_lo
	s_wait_dscnt 0x0
	s_barrier_signal -1
	s_barrier_wait -1
	v_cmpx_lt_u64_e64 s[4:5], v[4:5]
	s_cbranch_execz .LBB24_3
; %bb.7:                                ;   in Loop: Header=BB24_4 Depth=1
	flat_load_b128 v[16:19], v[10:11] offset:-8
	ds_load_2addr_b64 v[20:23], v14 offset1:1
	s_wait_loadcnt_dscnt 0x0
	v_mul_f64_e32 v[8:9], v[18:19], v[22:23]
	v_mul_f64_e32 v[12:13], v[18:19], v[20:21]
	s_delay_alu instid0(VALU_DEP_2) | instskip(NEXT) | instid1(VALU_DEP_2)
	v_fmac_f64_e32 v[8:9], v[16:17], v[20:21]
	v_fma_f64 v[12:13], v[16:17], v[22:23], -v[12:13]
	s_branch .LBB24_3
.LBB24_8:
	s_wait_loadcnt_dscnt 0x0
	flat_store_b128 v[6:7], v[0:3]
.LBB24_9:
	s_endpgm
	.section	.rodata,"a",@progbits
	.p2align	6, 0x0
	.amdhsa_kernel _ZN9rocsolver6v33100L37conj_unit_forward_substitution_kernelI19rocblas_complex_numIdElPKPS3_EEvT0_S7_T1_S7_S7_llS8_S7_S7_ll
		.amdhsa_group_segment_fixed_size 0
		.amdhsa_private_segment_fixed_size 0
		.amdhsa_kernarg_size 352
		.amdhsa_user_sgpr_count 2
		.amdhsa_user_sgpr_dispatch_ptr 0
		.amdhsa_user_sgpr_queue_ptr 0
		.amdhsa_user_sgpr_kernarg_segment_ptr 1
		.amdhsa_user_sgpr_dispatch_id 0
		.amdhsa_user_sgpr_kernarg_preload_length 0
		.amdhsa_user_sgpr_kernarg_preload_offset 0
		.amdhsa_user_sgpr_private_segment_size 0
		.amdhsa_wavefront_size32 1
		.amdhsa_uses_dynamic_stack 0
		.amdhsa_enable_private_segment 0
		.amdhsa_system_sgpr_workgroup_id_x 1
		.amdhsa_system_sgpr_workgroup_id_y 1
		.amdhsa_system_sgpr_workgroup_id_z 1
		.amdhsa_system_sgpr_workgroup_info 0
		.amdhsa_system_vgpr_workitem_id 1
		.amdhsa_next_free_vgpr 24
		.amdhsa_next_free_sgpr 20
		.amdhsa_named_barrier_count 0
		.amdhsa_reserve_vcc 1
		.amdhsa_float_round_mode_32 0
		.amdhsa_float_round_mode_16_64 0
		.amdhsa_float_denorm_mode_32 3
		.amdhsa_float_denorm_mode_16_64 3
		.amdhsa_fp16_overflow 0
		.amdhsa_memory_ordered 1
		.amdhsa_forward_progress 1
		.amdhsa_inst_pref_size 5
		.amdhsa_round_robin_scheduling 0
		.amdhsa_exception_fp_ieee_invalid_op 0
		.amdhsa_exception_fp_denorm_src 0
		.amdhsa_exception_fp_ieee_div_zero 0
		.amdhsa_exception_fp_ieee_overflow 0
		.amdhsa_exception_fp_ieee_underflow 0
		.amdhsa_exception_fp_ieee_inexact 0
		.amdhsa_exception_int_div_zero 0
	.end_amdhsa_kernel
	.section	.text._ZN9rocsolver6v33100L37conj_unit_forward_substitution_kernelI19rocblas_complex_numIdElPKPS3_EEvT0_S7_T1_S7_S7_llS8_S7_S7_ll,"axG",@progbits,_ZN9rocsolver6v33100L37conj_unit_forward_substitution_kernelI19rocblas_complex_numIdElPKPS3_EEvT0_S7_T1_S7_S7_llS8_S7_S7_ll,comdat
.Lfunc_end24:
	.size	_ZN9rocsolver6v33100L37conj_unit_forward_substitution_kernelI19rocblas_complex_numIdElPKPS3_EEvT0_S7_T1_S7_S7_llS8_S7_S7_ll, .Lfunc_end24-_ZN9rocsolver6v33100L37conj_unit_forward_substitution_kernelI19rocblas_complex_numIdElPKPS3_EEvT0_S7_T1_S7_S7_llS8_S7_S7_ll
                                        ; -- End function
	.set _ZN9rocsolver6v33100L37conj_unit_forward_substitution_kernelI19rocblas_complex_numIdElPKPS3_EEvT0_S7_T1_S7_S7_llS8_S7_S7_ll.num_vgpr, 24
	.set _ZN9rocsolver6v33100L37conj_unit_forward_substitution_kernelI19rocblas_complex_numIdElPKPS3_EEvT0_S7_T1_S7_S7_llS8_S7_S7_ll.num_agpr, 0
	.set _ZN9rocsolver6v33100L37conj_unit_forward_substitution_kernelI19rocblas_complex_numIdElPKPS3_EEvT0_S7_T1_S7_S7_llS8_S7_S7_ll.numbered_sgpr, 20
	.set _ZN9rocsolver6v33100L37conj_unit_forward_substitution_kernelI19rocblas_complex_numIdElPKPS3_EEvT0_S7_T1_S7_S7_llS8_S7_S7_ll.num_named_barrier, 0
	.set _ZN9rocsolver6v33100L37conj_unit_forward_substitution_kernelI19rocblas_complex_numIdElPKPS3_EEvT0_S7_T1_S7_S7_llS8_S7_S7_ll.private_seg_size, 0
	.set _ZN9rocsolver6v33100L37conj_unit_forward_substitution_kernelI19rocblas_complex_numIdElPKPS3_EEvT0_S7_T1_S7_S7_llS8_S7_S7_ll.uses_vcc, 1
	.set _ZN9rocsolver6v33100L37conj_unit_forward_substitution_kernelI19rocblas_complex_numIdElPKPS3_EEvT0_S7_T1_S7_S7_llS8_S7_S7_ll.uses_flat_scratch, 0
	.set _ZN9rocsolver6v33100L37conj_unit_forward_substitution_kernelI19rocblas_complex_numIdElPKPS3_EEvT0_S7_T1_S7_S7_llS8_S7_S7_ll.has_dyn_sized_stack, 0
	.set _ZN9rocsolver6v33100L37conj_unit_forward_substitution_kernelI19rocblas_complex_numIdElPKPS3_EEvT0_S7_T1_S7_S7_llS8_S7_S7_ll.has_recursion, 0
	.set _ZN9rocsolver6v33100L37conj_unit_forward_substitution_kernelI19rocblas_complex_numIdElPKPS3_EEvT0_S7_T1_S7_S7_llS8_S7_S7_ll.has_indirect_call, 0
	.section	.AMDGPU.csdata,"",@progbits
; Kernel info:
; codeLenInByte = 528
; TotalNumSgprs: 22
; NumVgprs: 24
; ScratchSize: 0
; MemoryBound: 0
; FloatMode: 240
; IeeeMode: 1
; LDSByteSize: 0 bytes/workgroup (compile time only)
; SGPRBlocks: 0
; VGPRBlocks: 1
; NumSGPRsForWavesPerEU: 22
; NumVGPRsForWavesPerEU: 24
; NamedBarCnt: 0
; Occupancy: 16
; WaveLimiterHint : 1
; COMPUTE_PGM_RSRC2:SCRATCH_EN: 0
; COMPUTE_PGM_RSRC2:USER_SGPR: 2
; COMPUTE_PGM_RSRC2:TRAP_HANDLER: 0
; COMPUTE_PGM_RSRC2:TGID_X_EN: 1
; COMPUTE_PGM_RSRC2:TGID_Y_EN: 1
; COMPUTE_PGM_RSRC2:TGID_Z_EN: 1
; COMPUTE_PGM_RSRC2:TIDIG_COMP_CNT: 1
	.section	.text._ZN9rocsolver6v33100L40conj_nonunit_forward_substitution_kernelI19rocblas_complex_numIdElPKPS3_EEvT0_S7_T1_S7_S7_llS8_S7_S7_ll,"axG",@progbits,_ZN9rocsolver6v33100L40conj_nonunit_forward_substitution_kernelI19rocblas_complex_numIdElPKPS3_EEvT0_S7_T1_S7_S7_llS8_S7_S7_ll,comdat
	.globl	_ZN9rocsolver6v33100L40conj_nonunit_forward_substitution_kernelI19rocblas_complex_numIdElPKPS3_EEvT0_S7_T1_S7_S7_llS8_S7_S7_ll ; -- Begin function _ZN9rocsolver6v33100L40conj_nonunit_forward_substitution_kernelI19rocblas_complex_numIdElPKPS3_EEvT0_S7_T1_S7_S7_llS8_S7_S7_ll
	.p2align	8
	.type	_ZN9rocsolver6v33100L40conj_nonunit_forward_substitution_kernelI19rocblas_complex_numIdElPKPS3_EEvT0_S7_T1_S7_S7_llS8_S7_S7_ll,@function
_ZN9rocsolver6v33100L40conj_nonunit_forward_substitution_kernelI19rocblas_complex_numIdElPKPS3_EEvT0_S7_T1_S7_S7_llS8_S7_S7_ll: ; @_ZN9rocsolver6v33100L40conj_nonunit_forward_substitution_kernelI19rocblas_complex_numIdElPKPS3_EEvT0_S7_T1_S7_S7_llS8_S7_S7_ll
; %bb.0:
	s_clause 0x1
	s_load_u16 s3, s[0:1], 0x6e
	s_load_b256 s[4:11], s[0:1], 0x0
	s_bfe_u32 s2, ttmp6, 0x40010
	v_mov_b32_e32 v11, 0
	s_and_b32 s12, ttmp7, 0xffff
	s_add_co_i32 s2, s2, 1
	s_bfe_u32 s14, ttmp6, 0x40004
	s_mul_i32 s13, s12, s2
	s_getreg_b32 s2, hwreg(HW_REG_IB_STS2, 6, 4)
	v_bfe_u32 v4, v0, 10, 10
	v_mov_b32_e32 v5, v11
	s_add_co_i32 s14, s14, s13
	s_cmp_eq_u32 s2, 0
	s_cselect_b32 s12, s12, s14
	s_wait_kmcnt 0x0
	v_mad_nc_u64_u32 v[2:3], s3, s12, v[4:5]
	s_mov_b32 s3, exec_lo
	s_delay_alu instid0(VALU_DEP_1)
	v_cmpx_gt_i64_e64 s[6:7], v[2:3]
	s_cbranch_execz .LBB25_19
; %bb.1:
	s_load_b256 s[12:19], s[0:1], 0x38
	v_and_b32_e32 v10, 0x3ff, v0
	s_bfe_u32 s3, ttmp6, 0x40014
	s_lshr_b32 s6, ttmp7, 16
	s_add_co_i32 s3, s3, 1
	s_bfe_u32 s7, ttmp6, 0x40008
	s_mul_i32 s3, s6, s3
	s_delay_alu instid0(SALU_CYCLE_1)
	s_add_co_i32 s7, s7, s3
	s_cmp_eq_u32 s2, 0
	s_wait_kmcnt 0x0
	v_mul_u64_e32 v[0:1], s[14:15], v[10:11]
	v_mul_u64_e32 v[2:3], s[16:17], v[2:3]
	s_cselect_b32 s14, s6, s7
	s_lshl_b64 s[6:7], s[18:19], 4
	s_load_b64 s[2:3], s[12:13], s14 offset:0x0 scale_offset
	s_wait_kmcnt 0x0
	s_add_nc_u64 s[2:3], s[2:3], s[6:7]
	s_delay_alu instid0(VALU_DEP_2) | instid1(SALU_CYCLE_1)
	v_lshl_add_u64 v[0:1], v[0:1], 4, s[2:3]
	s_load_b128 s[0:3], s[0:1], 0x20
	s_delay_alu instid0(VALU_DEP_1)
	v_lshl_add_u64 v[8:9], v[2:3], 4, v[0:1]
	flat_load_b128 v[0:3], v[8:9]
	s_wait_kmcnt 0x0
	s_add_nc_u64 s[6:7], s[0:1], s[10:11]
	s_lshl_b64 s[2:3], s[2:3], 4
	v_mul_u64_e32 v[12:13], s[6:7], v[10:11]
	s_load_b64 s[6:7], s[8:9], s14 offset:0x0 scale_offset
	s_wait_xcnt 0x0
	v_cmp_lt_i64_e64 s8, s[4:5], 2
	s_add_nc_u64 s[4:5], s[4:5], -1
	s_and_b32 vcc_lo, exec_lo, s8
	s_wait_kmcnt 0x0
	s_add_nc_u64 s[2:3], s[6:7], s[2:3]
	s_cbranch_vccnz .LBB25_12
; %bb.2:
	v_mul_u64_e32 v[6:7], s[10:11], v[10:11]
	v_lshl_add_u64 v[16:17], v[12:13], 4, s[2:3]
	v_lshl_add_u32 v18, v4, 4, 0
	s_lshl_b64 s[0:1], s[0:1], 4
	s_mov_b64 s[6:7], 0
	s_delay_alu instid0(VALU_DEP_3) | instskip(NEXT) | instid1(VALU_DEP_1)
	v_lshl_add_u64 v[6:7], v[6:7], 4, s[2:3]
	v_add_nc_u64_e32 v[14:15], 8, v[6:7]
	s_branch .LBB25_4
.LBB25_3:                               ;   in Loop: Header=BB25_4 Depth=1
	s_or_b32 exec_lo, exec_lo, s8
	s_delay_alu instid0(VALU_DEP_2) | instskip(NEXT) | instid1(VALU_DEP_2)
	v_add_f64_e64 v[0:1], v[0:1], -v[4:5]
	v_add_f64_e64 v[2:3], v[2:3], -v[6:7]
	v_add_nc_u64_e32 v[14:15], s[0:1], v[14:15]
	s_add_nc_u64 s[6:7], s[6:7], 1
	s_delay_alu instid0(SALU_CYCLE_1)
	s_cmp_eq_u64 s[4:5], s[6:7]
	s_cbranch_scc1 .LBB25_12
.LBB25_4:                               ; =>This Inner Loop Header: Depth=1
	s_mov_b32 s8, exec_lo
	s_wait_loadcnt_dscnt 0x0
	s_barrier_signal -1
	s_barrier_wait -1
	v_cmpx_eq_u64_e64 s[6:7], v[10:11]
	s_cbranch_execz .LBB25_10
; %bb.5:                                ;   in Loop: Header=BB25_4 Depth=1
	flat_load_b128 v[4:7], v[16:17]
	s_wait_loadcnt_dscnt 0x0
	v_cmp_ngt_f64_e64 s9, |v[4:5]|, |v[6:7]|
	s_and_saveexec_b32 s10, s9
	s_delay_alu instid0(SALU_CYCLE_1)
	s_xor_b32 s9, exec_lo, s10
	s_cbranch_execz .LBB25_7
; %bb.6:                                ;   in Loop: Header=BB25_4 Depth=1
	v_div_scale_f64 v[20:21], null, -v[6:7], -v[6:7], v[4:5]
	v_div_scale_f64 v[26:27], vcc_lo, v[4:5], -v[6:7], v[4:5]
	s_delay_alu instid0(VALU_DEP_2) | instskip(SKIP_1) | instid1(TRANS32_DEP_1)
	v_rcp_f64_e32 v[22:23], v[20:21]
	v_nop
	v_fma_f64 v[24:25], -v[20:21], v[22:23], 1.0
	s_delay_alu instid0(VALU_DEP_1) | instskip(NEXT) | instid1(VALU_DEP_1)
	v_fmac_f64_e32 v[22:23], v[22:23], v[24:25]
	v_fma_f64 v[24:25], -v[20:21], v[22:23], 1.0
	s_delay_alu instid0(VALU_DEP_1) | instskip(NEXT) | instid1(VALU_DEP_1)
	v_fmac_f64_e32 v[22:23], v[22:23], v[24:25]
	v_mul_f64_e32 v[24:25], v[26:27], v[22:23]
	s_delay_alu instid0(VALU_DEP_1) | instskip(NEXT) | instid1(VALU_DEP_1)
	v_fma_f64 v[20:21], -v[20:21], v[24:25], v[26:27]
	v_div_fmas_f64 v[20:21], v[20:21], v[22:23], v[24:25]
	s_delay_alu instid0(VALU_DEP_1) | instskip(NEXT) | instid1(VALU_DEP_1)
	v_div_fixup_f64 v[20:21], v[20:21], -v[6:7], v[4:5]
	v_fma_f64 v[4:5], v[4:5], v[20:21], -v[6:7]
	s_delay_alu instid0(VALU_DEP_1) | instskip(SKIP_1) | instid1(VALU_DEP_2)
	v_div_scale_f64 v[6:7], null, v[4:5], v[4:5], 1.0
	v_div_scale_f64 v[26:27], vcc_lo, 1.0, v[4:5], 1.0
	v_rcp_f64_e32 v[22:23], v[6:7]
	v_nop
	s_delay_alu instid0(TRANS32_DEP_1) | instskip(NEXT) | instid1(VALU_DEP_1)
	v_fma_f64 v[24:25], -v[6:7], v[22:23], 1.0
	v_fmac_f64_e32 v[22:23], v[22:23], v[24:25]
	s_delay_alu instid0(VALU_DEP_1) | instskip(NEXT) | instid1(VALU_DEP_1)
	v_fma_f64 v[24:25], -v[6:7], v[22:23], 1.0
	v_fmac_f64_e32 v[22:23], v[22:23], v[24:25]
	s_delay_alu instid0(VALU_DEP_1) | instskip(NEXT) | instid1(VALU_DEP_1)
	v_mul_f64_e32 v[24:25], v[26:27], v[22:23]
	v_fma_f64 v[6:7], -v[6:7], v[24:25], v[26:27]
	s_delay_alu instid0(VALU_DEP_1) | instskip(NEXT) | instid1(VALU_DEP_1)
	v_div_fmas_f64 v[6:7], v[6:7], v[22:23], v[24:25]
	v_div_fixup_f64 v[4:5], v[6:7], v[4:5], 1.0
	v_fma_f64 v[6:7], v[0:1], v[20:21], v[2:3]
	v_fma_f64 v[0:1], v[2:3], v[20:21], -v[0:1]
	s_delay_alu instid0(VALU_DEP_2) | instskip(NEXT) | instid1(VALU_DEP_2)
	v_mul_f64_e32 v[6:7], v[6:7], v[4:5]
	v_mul_f64_e32 v[2:3], v[0:1], v[4:5]
	s_delay_alu instid0(VALU_DEP_2)
	v_mov_b64_e32 v[0:1], v[6:7]
                                        ; implicit-def: $vgpr4_vgpr5
.LBB25_7:                               ;   in Loop: Header=BB25_4 Depth=1
	s_and_not1_saveexec_b32 s9, s9
	s_cbranch_execz .LBB25_9
; %bb.8:                                ;   in Loop: Header=BB25_4 Depth=1
	v_div_scale_f64 v[20:21], null, v[4:5], v[4:5], -v[6:7]
	v_div_scale_f64 v[26:27], vcc_lo, -v[6:7], v[4:5], -v[6:7]
	s_delay_alu instid0(VALU_DEP_2) | instskip(SKIP_1) | instid1(TRANS32_DEP_1)
	v_rcp_f64_e32 v[22:23], v[20:21]
	v_nop
	v_fma_f64 v[24:25], -v[20:21], v[22:23], 1.0
	s_delay_alu instid0(VALU_DEP_1) | instskip(NEXT) | instid1(VALU_DEP_1)
	v_fmac_f64_e32 v[22:23], v[22:23], v[24:25]
	v_fma_f64 v[24:25], -v[20:21], v[22:23], 1.0
	s_delay_alu instid0(VALU_DEP_1) | instskip(NEXT) | instid1(VALU_DEP_1)
	v_fmac_f64_e32 v[22:23], v[22:23], v[24:25]
	v_mul_f64_e32 v[24:25], v[26:27], v[22:23]
	s_delay_alu instid0(VALU_DEP_1) | instskip(NEXT) | instid1(VALU_DEP_1)
	v_fma_f64 v[20:21], -v[20:21], v[24:25], v[26:27]
	v_div_fmas_f64 v[20:21], v[20:21], v[22:23], v[24:25]
	s_delay_alu instid0(VALU_DEP_1) | instskip(NEXT) | instid1(VALU_DEP_1)
	v_div_fixup_f64 v[20:21], v[20:21], v[4:5], -v[6:7]
	v_fma_f64 v[4:5], -v[6:7], v[20:21], v[4:5]
	s_delay_alu instid0(VALU_DEP_1) | instskip(SKIP_1) | instid1(VALU_DEP_2)
	v_div_scale_f64 v[6:7], null, v[4:5], v[4:5], 1.0
	v_div_scale_f64 v[26:27], vcc_lo, 1.0, v[4:5], 1.0
	v_rcp_f64_e32 v[22:23], v[6:7]
	v_nop
	s_delay_alu instid0(TRANS32_DEP_1) | instskip(NEXT) | instid1(VALU_DEP_1)
	v_fma_f64 v[24:25], -v[6:7], v[22:23], 1.0
	v_fmac_f64_e32 v[22:23], v[22:23], v[24:25]
	s_delay_alu instid0(VALU_DEP_1) | instskip(NEXT) | instid1(VALU_DEP_1)
	v_fma_f64 v[24:25], -v[6:7], v[22:23], 1.0
	v_fmac_f64_e32 v[22:23], v[22:23], v[24:25]
	s_delay_alu instid0(VALU_DEP_1) | instskip(NEXT) | instid1(VALU_DEP_1)
	v_mul_f64_e32 v[24:25], v[26:27], v[22:23]
	v_fma_f64 v[6:7], -v[6:7], v[24:25], v[26:27]
	s_delay_alu instid0(VALU_DEP_1) | instskip(NEXT) | instid1(VALU_DEP_1)
	v_div_fmas_f64 v[6:7], v[6:7], v[22:23], v[24:25]
	v_div_fixup_f64 v[4:5], v[6:7], v[4:5], 1.0
	v_fma_f64 v[6:7], v[2:3], v[20:21], v[0:1]
	v_fma_f64 v[0:1], -v[0:1], v[20:21], v[2:3]
	s_delay_alu instid0(VALU_DEP_2) | instskip(NEXT) | instid1(VALU_DEP_2)
	v_mul_f64_e32 v[6:7], v[6:7], v[4:5]
	v_mul_f64_e32 v[2:3], v[0:1], v[4:5]
	s_delay_alu instid0(VALU_DEP_2)
	v_mov_b64_e32 v[0:1], v[6:7]
.LBB25_9:                               ;   in Loop: Header=BB25_4 Depth=1
	s_or_b32 exec_lo, exec_lo, s9
	ds_store_2addr_b64 v18, v[0:1], v[2:3] offset1:1
.LBB25_10:                              ;   in Loop: Header=BB25_4 Depth=1
	s_or_b32 exec_lo, exec_lo, s8
	v_mov_b64_e32 v[4:5], 0
	v_mov_b64_e32 v[6:7], 0
	s_mov_b32 s8, exec_lo
	s_wait_dscnt 0x0
	s_barrier_signal -1
	s_barrier_wait -1
	v_cmpx_lt_u64_e64 s[6:7], v[10:11]
	s_cbranch_execz .LBB25_3
; %bb.11:                               ;   in Loop: Header=BB25_4 Depth=1
	flat_load_b128 v[20:23], v[14:15] offset:-8
	ds_load_2addr_b64 v[24:27], v18 offset1:1
	s_wait_loadcnt_dscnt 0x0
	v_mul_f64_e32 v[4:5], v[22:23], v[26:27]
	v_mul_f64_e32 v[6:7], v[22:23], v[24:25]
	s_delay_alu instid0(VALU_DEP_2) | instskip(NEXT) | instid1(VALU_DEP_2)
	v_fmac_f64_e32 v[4:5], v[20:21], v[24:25]
	v_fma_f64 v[6:7], v[20:21], v[26:27], -v[6:7]
	s_branch .LBB25_3
.LBB25_12:
	s_mov_b32 s0, exec_lo
	v_cmpx_eq_u64_e64 s[4:5], v[10:11]
	s_cbranch_execz .LBB25_18
; %bb.13:
	v_lshl_add_u64 v[4:5], v[12:13], 4, s[2:3]
	flat_load_b128 v[4:7], v[4:5]
	s_wait_loadcnt_dscnt 0x0
	v_cmp_ngt_f64_e64 s1, |v[4:5]|, |v[6:7]|
	s_and_saveexec_b32 s2, s1
	s_delay_alu instid0(SALU_CYCLE_1)
	s_xor_b32 s1, exec_lo, s2
	s_cbranch_execz .LBB25_15
; %bb.14:
	v_div_scale_f64 v[10:11], null, -v[6:7], -v[6:7], v[4:5]
	v_div_scale_f64 v[16:17], vcc_lo, v[4:5], -v[6:7], v[4:5]
	s_delay_alu instid0(VALU_DEP_2) | instskip(SKIP_1) | instid1(TRANS32_DEP_1)
	v_rcp_f64_e32 v[12:13], v[10:11]
	v_nop
	v_fma_f64 v[14:15], -v[10:11], v[12:13], 1.0
	s_delay_alu instid0(VALU_DEP_1) | instskip(NEXT) | instid1(VALU_DEP_1)
	v_fmac_f64_e32 v[12:13], v[12:13], v[14:15]
	v_fma_f64 v[14:15], -v[10:11], v[12:13], 1.0
	s_delay_alu instid0(VALU_DEP_1) | instskip(NEXT) | instid1(VALU_DEP_1)
	v_fmac_f64_e32 v[12:13], v[12:13], v[14:15]
	v_mul_f64_e32 v[14:15], v[16:17], v[12:13]
	s_delay_alu instid0(VALU_DEP_1) | instskip(NEXT) | instid1(VALU_DEP_1)
	v_fma_f64 v[10:11], -v[10:11], v[14:15], v[16:17]
	v_div_fmas_f64 v[10:11], v[10:11], v[12:13], v[14:15]
	s_delay_alu instid0(VALU_DEP_1) | instskip(NEXT) | instid1(VALU_DEP_1)
	v_div_fixup_f64 v[10:11], v[10:11], -v[6:7], v[4:5]
	v_fma_f64 v[4:5], v[4:5], v[10:11], -v[6:7]
	s_delay_alu instid0(VALU_DEP_1) | instskip(SKIP_1) | instid1(VALU_DEP_2)
	v_div_scale_f64 v[6:7], null, v[4:5], v[4:5], 1.0
	v_div_scale_f64 v[16:17], vcc_lo, 1.0, v[4:5], 1.0
	v_rcp_f64_e32 v[12:13], v[6:7]
	v_nop
	s_delay_alu instid0(TRANS32_DEP_1) | instskip(NEXT) | instid1(VALU_DEP_1)
	v_fma_f64 v[14:15], -v[6:7], v[12:13], 1.0
	v_fmac_f64_e32 v[12:13], v[12:13], v[14:15]
	s_delay_alu instid0(VALU_DEP_1) | instskip(NEXT) | instid1(VALU_DEP_1)
	v_fma_f64 v[14:15], -v[6:7], v[12:13], 1.0
	v_fmac_f64_e32 v[12:13], v[12:13], v[14:15]
	s_delay_alu instid0(VALU_DEP_1) | instskip(NEXT) | instid1(VALU_DEP_1)
	v_mul_f64_e32 v[14:15], v[16:17], v[12:13]
	v_fma_f64 v[6:7], -v[6:7], v[14:15], v[16:17]
	s_delay_alu instid0(VALU_DEP_1) | instskip(NEXT) | instid1(VALU_DEP_1)
	v_div_fmas_f64 v[6:7], v[6:7], v[12:13], v[14:15]
	v_div_fixup_f64 v[4:5], v[6:7], v[4:5], 1.0
	v_fma_f64 v[6:7], v[0:1], v[10:11], v[2:3]
	v_fma_f64 v[0:1], v[2:3], v[10:11], -v[0:1]
	s_delay_alu instid0(VALU_DEP_2) | instskip(NEXT) | instid1(VALU_DEP_2)
	v_mul_f64_e32 v[6:7], v[6:7], v[4:5]
	v_mul_f64_e32 v[2:3], v[0:1], v[4:5]
	s_delay_alu instid0(VALU_DEP_2)
	v_mov_b64_e32 v[0:1], v[6:7]
                                        ; implicit-def: $vgpr4_vgpr5
.LBB25_15:
	s_and_not1_saveexec_b32 s1, s1
	s_cbranch_execz .LBB25_17
; %bb.16:
	v_div_scale_f64 v[10:11], null, v[4:5], v[4:5], -v[6:7]
	v_div_scale_f64 v[16:17], vcc_lo, -v[6:7], v[4:5], -v[6:7]
	s_delay_alu instid0(VALU_DEP_2) | instskip(SKIP_1) | instid1(TRANS32_DEP_1)
	v_rcp_f64_e32 v[12:13], v[10:11]
	v_nop
	v_fma_f64 v[14:15], -v[10:11], v[12:13], 1.0
	s_delay_alu instid0(VALU_DEP_1) | instskip(NEXT) | instid1(VALU_DEP_1)
	v_fmac_f64_e32 v[12:13], v[12:13], v[14:15]
	v_fma_f64 v[14:15], -v[10:11], v[12:13], 1.0
	s_delay_alu instid0(VALU_DEP_1) | instskip(NEXT) | instid1(VALU_DEP_1)
	v_fmac_f64_e32 v[12:13], v[12:13], v[14:15]
	v_mul_f64_e32 v[14:15], v[16:17], v[12:13]
	s_delay_alu instid0(VALU_DEP_1) | instskip(NEXT) | instid1(VALU_DEP_1)
	v_fma_f64 v[10:11], -v[10:11], v[14:15], v[16:17]
	v_div_fmas_f64 v[10:11], v[10:11], v[12:13], v[14:15]
	s_delay_alu instid0(VALU_DEP_1) | instskip(NEXT) | instid1(VALU_DEP_1)
	v_div_fixup_f64 v[10:11], v[10:11], v[4:5], -v[6:7]
	v_fma_f64 v[4:5], -v[6:7], v[10:11], v[4:5]
	s_delay_alu instid0(VALU_DEP_1) | instskip(SKIP_1) | instid1(VALU_DEP_2)
	v_div_scale_f64 v[6:7], null, v[4:5], v[4:5], 1.0
	v_div_scale_f64 v[16:17], vcc_lo, 1.0, v[4:5], 1.0
	v_rcp_f64_e32 v[12:13], v[6:7]
	v_nop
	s_delay_alu instid0(TRANS32_DEP_1) | instskip(NEXT) | instid1(VALU_DEP_1)
	v_fma_f64 v[14:15], -v[6:7], v[12:13], 1.0
	v_fmac_f64_e32 v[12:13], v[12:13], v[14:15]
	s_delay_alu instid0(VALU_DEP_1) | instskip(NEXT) | instid1(VALU_DEP_1)
	v_fma_f64 v[14:15], -v[6:7], v[12:13], 1.0
	v_fmac_f64_e32 v[12:13], v[12:13], v[14:15]
	s_delay_alu instid0(VALU_DEP_1) | instskip(NEXT) | instid1(VALU_DEP_1)
	v_mul_f64_e32 v[14:15], v[16:17], v[12:13]
	v_fma_f64 v[6:7], -v[6:7], v[14:15], v[16:17]
	s_delay_alu instid0(VALU_DEP_1) | instskip(NEXT) | instid1(VALU_DEP_1)
	v_div_fmas_f64 v[6:7], v[6:7], v[12:13], v[14:15]
	v_div_fixup_f64 v[4:5], v[6:7], v[4:5], 1.0
	v_fma_f64 v[6:7], v[2:3], v[10:11], v[0:1]
	v_fma_f64 v[0:1], -v[0:1], v[10:11], v[2:3]
	s_delay_alu instid0(VALU_DEP_2) | instskip(NEXT) | instid1(VALU_DEP_2)
	v_mul_f64_e32 v[6:7], v[6:7], v[4:5]
	v_mul_f64_e32 v[2:3], v[0:1], v[4:5]
	s_delay_alu instid0(VALU_DEP_2)
	v_mov_b64_e32 v[0:1], v[6:7]
.LBB25_17:
	s_or_b32 exec_lo, exec_lo, s1
.LBB25_18:
	s_delay_alu instid0(SALU_CYCLE_1)
	s_or_b32 exec_lo, exec_lo, s0
	s_wait_loadcnt_dscnt 0x0
	flat_store_b128 v[8:9], v[0:3]
.LBB25_19:
	s_endpgm
	.section	.rodata,"a",@progbits
	.p2align	6, 0x0
	.amdhsa_kernel _ZN9rocsolver6v33100L40conj_nonunit_forward_substitution_kernelI19rocblas_complex_numIdElPKPS3_EEvT0_S7_T1_S7_S7_llS8_S7_S7_ll
		.amdhsa_group_segment_fixed_size 0
		.amdhsa_private_segment_fixed_size 0
		.amdhsa_kernarg_size 352
		.amdhsa_user_sgpr_count 2
		.amdhsa_user_sgpr_dispatch_ptr 0
		.amdhsa_user_sgpr_queue_ptr 0
		.amdhsa_user_sgpr_kernarg_segment_ptr 1
		.amdhsa_user_sgpr_dispatch_id 0
		.amdhsa_user_sgpr_kernarg_preload_length 0
		.amdhsa_user_sgpr_kernarg_preload_offset 0
		.amdhsa_user_sgpr_private_segment_size 0
		.amdhsa_wavefront_size32 1
		.amdhsa_uses_dynamic_stack 0
		.amdhsa_enable_private_segment 0
		.amdhsa_system_sgpr_workgroup_id_x 1
		.amdhsa_system_sgpr_workgroup_id_y 1
		.amdhsa_system_sgpr_workgroup_id_z 1
		.amdhsa_system_sgpr_workgroup_info 0
		.amdhsa_system_vgpr_workitem_id 1
		.amdhsa_next_free_vgpr 28
		.amdhsa_next_free_sgpr 20
		.amdhsa_named_barrier_count 0
		.amdhsa_reserve_vcc 1
		.amdhsa_float_round_mode_32 0
		.amdhsa_float_round_mode_16_64 0
		.amdhsa_float_denorm_mode_32 3
		.amdhsa_float_denorm_mode_16_64 3
		.amdhsa_fp16_overflow 0
		.amdhsa_memory_ordered 1
		.amdhsa_forward_progress 1
		.amdhsa_inst_pref_size 13
		.amdhsa_round_robin_scheduling 0
		.amdhsa_exception_fp_ieee_invalid_op 0
		.amdhsa_exception_fp_denorm_src 0
		.amdhsa_exception_fp_ieee_div_zero 0
		.amdhsa_exception_fp_ieee_overflow 0
		.amdhsa_exception_fp_ieee_underflow 0
		.amdhsa_exception_fp_ieee_inexact 0
		.amdhsa_exception_int_div_zero 0
	.end_amdhsa_kernel
	.section	.text._ZN9rocsolver6v33100L40conj_nonunit_forward_substitution_kernelI19rocblas_complex_numIdElPKPS3_EEvT0_S7_T1_S7_S7_llS8_S7_S7_ll,"axG",@progbits,_ZN9rocsolver6v33100L40conj_nonunit_forward_substitution_kernelI19rocblas_complex_numIdElPKPS3_EEvT0_S7_T1_S7_S7_llS8_S7_S7_ll,comdat
.Lfunc_end25:
	.size	_ZN9rocsolver6v33100L40conj_nonunit_forward_substitution_kernelI19rocblas_complex_numIdElPKPS3_EEvT0_S7_T1_S7_S7_llS8_S7_S7_ll, .Lfunc_end25-_ZN9rocsolver6v33100L40conj_nonunit_forward_substitution_kernelI19rocblas_complex_numIdElPKPS3_EEvT0_S7_T1_S7_S7_llS8_S7_S7_ll
                                        ; -- End function
	.set _ZN9rocsolver6v33100L40conj_nonunit_forward_substitution_kernelI19rocblas_complex_numIdElPKPS3_EEvT0_S7_T1_S7_S7_llS8_S7_S7_ll.num_vgpr, 28
	.set _ZN9rocsolver6v33100L40conj_nonunit_forward_substitution_kernelI19rocblas_complex_numIdElPKPS3_EEvT0_S7_T1_S7_S7_llS8_S7_S7_ll.num_agpr, 0
	.set _ZN9rocsolver6v33100L40conj_nonunit_forward_substitution_kernelI19rocblas_complex_numIdElPKPS3_EEvT0_S7_T1_S7_S7_llS8_S7_S7_ll.numbered_sgpr, 20
	.set _ZN9rocsolver6v33100L40conj_nonunit_forward_substitution_kernelI19rocblas_complex_numIdElPKPS3_EEvT0_S7_T1_S7_S7_llS8_S7_S7_ll.num_named_barrier, 0
	.set _ZN9rocsolver6v33100L40conj_nonunit_forward_substitution_kernelI19rocblas_complex_numIdElPKPS3_EEvT0_S7_T1_S7_S7_llS8_S7_S7_ll.private_seg_size, 0
	.set _ZN9rocsolver6v33100L40conj_nonunit_forward_substitution_kernelI19rocblas_complex_numIdElPKPS3_EEvT0_S7_T1_S7_S7_llS8_S7_S7_ll.uses_vcc, 1
	.set _ZN9rocsolver6v33100L40conj_nonunit_forward_substitution_kernelI19rocblas_complex_numIdElPKPS3_EEvT0_S7_T1_S7_S7_llS8_S7_S7_ll.uses_flat_scratch, 0
	.set _ZN9rocsolver6v33100L40conj_nonunit_forward_substitution_kernelI19rocblas_complex_numIdElPKPS3_EEvT0_S7_T1_S7_S7_llS8_S7_S7_ll.has_dyn_sized_stack, 0
	.set _ZN9rocsolver6v33100L40conj_nonunit_forward_substitution_kernelI19rocblas_complex_numIdElPKPS3_EEvT0_S7_T1_S7_S7_llS8_S7_S7_ll.has_recursion, 0
	.set _ZN9rocsolver6v33100L40conj_nonunit_forward_substitution_kernelI19rocblas_complex_numIdElPKPS3_EEvT0_S7_T1_S7_S7_llS8_S7_S7_ll.has_indirect_call, 0
	.section	.AMDGPU.csdata,"",@progbits
; Kernel info:
; codeLenInByte = 1628
; TotalNumSgprs: 22
; NumVgprs: 28
; ScratchSize: 0
; MemoryBound: 0
; FloatMode: 240
; IeeeMode: 1
; LDSByteSize: 0 bytes/workgroup (compile time only)
; SGPRBlocks: 0
; VGPRBlocks: 1
; NumSGPRsForWavesPerEU: 22
; NumVGPRsForWavesPerEU: 28
; NamedBarCnt: 0
; Occupancy: 16
; WaveLimiterHint : 1
; COMPUTE_PGM_RSRC2:SCRATCH_EN: 0
; COMPUTE_PGM_RSRC2:USER_SGPR: 2
; COMPUTE_PGM_RSRC2:TRAP_HANDLER: 0
; COMPUTE_PGM_RSRC2:TGID_X_EN: 1
; COMPUTE_PGM_RSRC2:TGID_Y_EN: 1
; COMPUTE_PGM_RSRC2:TGID_Z_EN: 1
; COMPUTE_PGM_RSRC2:TIDIG_COMP_CNT: 1
	.section	.text._ZN9rocsolver6v33100L32unit_forward_substitution_kernelI19rocblas_complex_numIdElPKPS3_EEvT0_S7_T1_S7_S7_llS8_S7_S7_ll,"axG",@progbits,_ZN9rocsolver6v33100L32unit_forward_substitution_kernelI19rocblas_complex_numIdElPKPS3_EEvT0_S7_T1_S7_S7_llS8_S7_S7_ll,comdat
	.globl	_ZN9rocsolver6v33100L32unit_forward_substitution_kernelI19rocblas_complex_numIdElPKPS3_EEvT0_S7_T1_S7_S7_llS8_S7_S7_ll ; -- Begin function _ZN9rocsolver6v33100L32unit_forward_substitution_kernelI19rocblas_complex_numIdElPKPS3_EEvT0_S7_T1_S7_S7_llS8_S7_S7_ll
	.p2align	8
	.type	_ZN9rocsolver6v33100L32unit_forward_substitution_kernelI19rocblas_complex_numIdElPKPS3_EEvT0_S7_T1_S7_S7_llS8_S7_S7_ll,@function
_ZN9rocsolver6v33100L32unit_forward_substitution_kernelI19rocblas_complex_numIdElPKPS3_EEvT0_S7_T1_S7_S7_llS8_S7_S7_ll: ; @_ZN9rocsolver6v33100L32unit_forward_substitution_kernelI19rocblas_complex_numIdElPKPS3_EEvT0_S7_T1_S7_S7_llS8_S7_S7_ll
; %bb.0:
	s_clause 0x1
	s_load_u16 s3, s[0:1], 0x6e
	s_load_b256 s[4:11], s[0:1], 0x0
	s_bfe_u32 s2, ttmp6, 0x40010
	v_mov_b32_e32 v5, 0
	s_and_b32 s12, ttmp7, 0xffff
	s_add_co_i32 s2, s2, 1
	s_bfe_u32 s14, ttmp6, 0x40004
	s_mul_i32 s13, s12, s2
	s_getreg_b32 s2, hwreg(HW_REG_IB_STS2, 6, 4)
	v_bfe_u32 v10, v0, 10, 10
	v_mov_b32_e32 v11, v5
	s_add_co_i32 s14, s14, s13
	s_cmp_eq_u32 s2, 0
	s_cselect_b32 s12, s12, s14
	s_wait_kmcnt 0x0
	v_mad_nc_u64_u32 v[2:3], s3, s12, v[10:11]
	s_mov_b32 s3, exec_lo
	s_delay_alu instid0(VALU_DEP_1)
	v_cmpx_gt_i64_e64 s[6:7], v[2:3]
	s_cbranch_execz .LBB26_9
; %bb.1:
	s_load_b256 s[12:19], s[0:1], 0x38
	v_and_b32_e32 v4, 0x3ff, v0
	s_bfe_u32 s3, ttmp6, 0x40014
	s_lshr_b32 s6, ttmp7, 16
	s_add_co_i32 s3, s3, 1
	s_bfe_u32 s7, ttmp6, 0x40008
	s_mul_i32 s3, s6, s3
	s_delay_alu instid0(SALU_CYCLE_1)
	s_add_co_i32 s7, s7, s3
	s_cmp_eq_u32 s2, 0
	s_cselect_b32 s6, s6, s7
	v_cmp_lt_i64_e64 s7, s[4:5], 2
	s_and_b32 vcc_lo, exec_lo, s7
	s_wait_kmcnt 0x0
	v_mul_u64_e32 v[0:1], s[14:15], v[4:5]
	v_mul_u64_e32 v[2:3], s[16:17], v[2:3]
	s_load_b64 s[2:3], s[12:13], s6 offset:0x0 scale_offset
	s_wait_xcnt 0x0
	s_lshl_b64 s[12:13], s[18:19], 4
	s_wait_kmcnt 0x0
	s_add_nc_u64 s[2:3], s[2:3], s[12:13]
	s_delay_alu instid0(VALU_DEP_2) | instid1(SALU_CYCLE_1)
	v_lshl_add_u64 v[0:1], v[0:1], 4, s[2:3]
	s_load_b128 s[0:3], s[0:1], 0x20
	s_delay_alu instid0(VALU_DEP_1)
	v_lshl_add_u64 v[6:7], v[2:3], 4, v[0:1]
	flat_load_b128 v[0:3], v[6:7]
	s_cbranch_vccnz .LBB26_8
; %bb.2:
	v_mul_u64_e32 v[8:9], s[10:11], v[4:5]
	s_load_b64 s[6:7], s[8:9], s6 offset:0x0 scale_offset
	s_wait_kmcnt 0x0
	s_lshl_b64 s[2:3], s[2:3], 4
	v_lshl_add_u32 v14, v10, 4, 0
	s_lshl_b64 s[0:1], s[0:1], 4
	s_add_nc_u64 s[2:3], s[6:7], s[2:3]
	s_delay_alu instid0(VALU_DEP_2) | instid1(SALU_CYCLE_1)
	v_lshl_add_u64 v[8:9], v[8:9], 4, s[2:3]
	s_add_nc_u64 s[2:3], s[4:5], -1
	s_mov_b64 s[4:5], 0
	s_delay_alu instid0(VALU_DEP_1)
	v_add_nc_u64_e32 v[8:9], 8, v[8:9]
	s_branch .LBB26_4
.LBB26_3:                               ;   in Loop: Header=BB26_4 Depth=1
	s_or_b32 exec_lo, exec_lo, s6
	s_delay_alu instid0(VALU_DEP_2) | instskip(NEXT) | instid1(VALU_DEP_2)
	v_add_f64_e64 v[0:1], v[0:1], -v[12:13]
	v_add_f64_e64 v[2:3], v[2:3], -v[10:11]
	v_add_nc_u64_e32 v[8:9], s[0:1], v[8:9]
	s_add_nc_u64 s[4:5], s[4:5], 1
	s_delay_alu instid0(SALU_CYCLE_1)
	s_cmp_eq_u64 s[2:3], s[4:5]
	s_cbranch_scc1 .LBB26_8
.LBB26_4:                               ; =>This Inner Loop Header: Depth=1
	s_mov_b32 s6, exec_lo
	s_wait_loadcnt_dscnt 0x0
	s_barrier_signal -1
	s_barrier_wait -1
	v_cmpx_eq_u64_e64 s[4:5], v[4:5]
; %bb.5:                                ;   in Loop: Header=BB26_4 Depth=1
	ds_store_2addr_b64 v14, v[0:1], v[2:3] offset1:1
; %bb.6:                                ;   in Loop: Header=BB26_4 Depth=1
	s_or_b32 exec_lo, exec_lo, s6
	v_mov_b64_e32 v[10:11], 0
	v_mov_b64_e32 v[12:13], 0
	s_mov_b32 s6, exec_lo
	s_wait_dscnt 0x0
	s_barrier_signal -1
	s_barrier_wait -1
	v_cmpx_lt_u64_e64 s[4:5], v[4:5]
	s_cbranch_execz .LBB26_3
; %bb.7:                                ;   in Loop: Header=BB26_4 Depth=1
	flat_load_b128 v[16:19], v[8:9] offset:-8
	ds_load_2addr_b64 v[20:23], v14 offset1:1
	s_wait_loadcnt_dscnt 0x0
	v_mul_f64_e32 v[12:13], v[22:23], v[18:19]
	v_mul_f64_e32 v[10:11], v[20:21], v[18:19]
	s_delay_alu instid0(VALU_DEP_2) | instskip(NEXT) | instid1(VALU_DEP_2)
	v_fma_f64 v[12:13], v[20:21], v[16:17], -v[12:13]
	v_fmac_f64_e32 v[10:11], v[22:23], v[16:17]
	s_branch .LBB26_3
.LBB26_8:
	s_wait_loadcnt_dscnt 0x0
	flat_store_b128 v[6:7], v[0:3]
.LBB26_9:
	s_endpgm
	.section	.rodata,"a",@progbits
	.p2align	6, 0x0
	.amdhsa_kernel _ZN9rocsolver6v33100L32unit_forward_substitution_kernelI19rocblas_complex_numIdElPKPS3_EEvT0_S7_T1_S7_S7_llS8_S7_S7_ll
		.amdhsa_group_segment_fixed_size 0
		.amdhsa_private_segment_fixed_size 0
		.amdhsa_kernarg_size 352
		.amdhsa_user_sgpr_count 2
		.amdhsa_user_sgpr_dispatch_ptr 0
		.amdhsa_user_sgpr_queue_ptr 0
		.amdhsa_user_sgpr_kernarg_segment_ptr 1
		.amdhsa_user_sgpr_dispatch_id 0
		.amdhsa_user_sgpr_kernarg_preload_length 0
		.amdhsa_user_sgpr_kernarg_preload_offset 0
		.amdhsa_user_sgpr_private_segment_size 0
		.amdhsa_wavefront_size32 1
		.amdhsa_uses_dynamic_stack 0
		.amdhsa_enable_private_segment 0
		.amdhsa_system_sgpr_workgroup_id_x 1
		.amdhsa_system_sgpr_workgroup_id_y 1
		.amdhsa_system_sgpr_workgroup_id_z 1
		.amdhsa_system_sgpr_workgroup_info 0
		.amdhsa_system_vgpr_workitem_id 1
		.amdhsa_next_free_vgpr 24
		.amdhsa_next_free_sgpr 20
		.amdhsa_named_barrier_count 0
		.amdhsa_reserve_vcc 1
		.amdhsa_float_round_mode_32 0
		.amdhsa_float_round_mode_16_64 0
		.amdhsa_float_denorm_mode_32 3
		.amdhsa_float_denorm_mode_16_64 3
		.amdhsa_fp16_overflow 0
		.amdhsa_memory_ordered 1
		.amdhsa_forward_progress 1
		.amdhsa_inst_pref_size 5
		.amdhsa_round_robin_scheduling 0
		.amdhsa_exception_fp_ieee_invalid_op 0
		.amdhsa_exception_fp_denorm_src 0
		.amdhsa_exception_fp_ieee_div_zero 0
		.amdhsa_exception_fp_ieee_overflow 0
		.amdhsa_exception_fp_ieee_underflow 0
		.amdhsa_exception_fp_ieee_inexact 0
		.amdhsa_exception_int_div_zero 0
	.end_amdhsa_kernel
	.section	.text._ZN9rocsolver6v33100L32unit_forward_substitution_kernelI19rocblas_complex_numIdElPKPS3_EEvT0_S7_T1_S7_S7_llS8_S7_S7_ll,"axG",@progbits,_ZN9rocsolver6v33100L32unit_forward_substitution_kernelI19rocblas_complex_numIdElPKPS3_EEvT0_S7_T1_S7_S7_llS8_S7_S7_ll,comdat
.Lfunc_end26:
	.size	_ZN9rocsolver6v33100L32unit_forward_substitution_kernelI19rocblas_complex_numIdElPKPS3_EEvT0_S7_T1_S7_S7_llS8_S7_S7_ll, .Lfunc_end26-_ZN9rocsolver6v33100L32unit_forward_substitution_kernelI19rocblas_complex_numIdElPKPS3_EEvT0_S7_T1_S7_S7_llS8_S7_S7_ll
                                        ; -- End function
	.set _ZN9rocsolver6v33100L32unit_forward_substitution_kernelI19rocblas_complex_numIdElPKPS3_EEvT0_S7_T1_S7_S7_llS8_S7_S7_ll.num_vgpr, 24
	.set _ZN9rocsolver6v33100L32unit_forward_substitution_kernelI19rocblas_complex_numIdElPKPS3_EEvT0_S7_T1_S7_S7_llS8_S7_S7_ll.num_agpr, 0
	.set _ZN9rocsolver6v33100L32unit_forward_substitution_kernelI19rocblas_complex_numIdElPKPS3_EEvT0_S7_T1_S7_S7_llS8_S7_S7_ll.numbered_sgpr, 20
	.set _ZN9rocsolver6v33100L32unit_forward_substitution_kernelI19rocblas_complex_numIdElPKPS3_EEvT0_S7_T1_S7_S7_llS8_S7_S7_ll.num_named_barrier, 0
	.set _ZN9rocsolver6v33100L32unit_forward_substitution_kernelI19rocblas_complex_numIdElPKPS3_EEvT0_S7_T1_S7_S7_llS8_S7_S7_ll.private_seg_size, 0
	.set _ZN9rocsolver6v33100L32unit_forward_substitution_kernelI19rocblas_complex_numIdElPKPS3_EEvT0_S7_T1_S7_S7_llS8_S7_S7_ll.uses_vcc, 1
	.set _ZN9rocsolver6v33100L32unit_forward_substitution_kernelI19rocblas_complex_numIdElPKPS3_EEvT0_S7_T1_S7_S7_llS8_S7_S7_ll.uses_flat_scratch, 0
	.set _ZN9rocsolver6v33100L32unit_forward_substitution_kernelI19rocblas_complex_numIdElPKPS3_EEvT0_S7_T1_S7_S7_llS8_S7_S7_ll.has_dyn_sized_stack, 0
	.set _ZN9rocsolver6v33100L32unit_forward_substitution_kernelI19rocblas_complex_numIdElPKPS3_EEvT0_S7_T1_S7_S7_llS8_S7_S7_ll.has_recursion, 0
	.set _ZN9rocsolver6v33100L32unit_forward_substitution_kernelI19rocblas_complex_numIdElPKPS3_EEvT0_S7_T1_S7_S7_llS8_S7_S7_ll.has_indirect_call, 0
	.section	.AMDGPU.csdata,"",@progbits
; Kernel info:
; codeLenInByte = 528
; TotalNumSgprs: 22
; NumVgprs: 24
; ScratchSize: 0
; MemoryBound: 0
; FloatMode: 240
; IeeeMode: 1
; LDSByteSize: 0 bytes/workgroup (compile time only)
; SGPRBlocks: 0
; VGPRBlocks: 1
; NumSGPRsForWavesPerEU: 22
; NumVGPRsForWavesPerEU: 24
; NamedBarCnt: 0
; Occupancy: 16
; WaveLimiterHint : 1
; COMPUTE_PGM_RSRC2:SCRATCH_EN: 0
; COMPUTE_PGM_RSRC2:USER_SGPR: 2
; COMPUTE_PGM_RSRC2:TRAP_HANDLER: 0
; COMPUTE_PGM_RSRC2:TGID_X_EN: 1
; COMPUTE_PGM_RSRC2:TGID_Y_EN: 1
; COMPUTE_PGM_RSRC2:TGID_Z_EN: 1
; COMPUTE_PGM_RSRC2:TIDIG_COMP_CNT: 1
	.section	.text._ZN9rocsolver6v33100L35nonunit_forward_substitution_kernelI19rocblas_complex_numIdElPKPS3_EEvT0_S7_T1_S7_S7_llS8_S7_S7_ll,"axG",@progbits,_ZN9rocsolver6v33100L35nonunit_forward_substitution_kernelI19rocblas_complex_numIdElPKPS3_EEvT0_S7_T1_S7_S7_llS8_S7_S7_ll,comdat
	.globl	_ZN9rocsolver6v33100L35nonunit_forward_substitution_kernelI19rocblas_complex_numIdElPKPS3_EEvT0_S7_T1_S7_S7_llS8_S7_S7_ll ; -- Begin function _ZN9rocsolver6v33100L35nonunit_forward_substitution_kernelI19rocblas_complex_numIdElPKPS3_EEvT0_S7_T1_S7_S7_llS8_S7_S7_ll
	.p2align	8
	.type	_ZN9rocsolver6v33100L35nonunit_forward_substitution_kernelI19rocblas_complex_numIdElPKPS3_EEvT0_S7_T1_S7_S7_llS8_S7_S7_ll,@function
_ZN9rocsolver6v33100L35nonunit_forward_substitution_kernelI19rocblas_complex_numIdElPKPS3_EEvT0_S7_T1_S7_S7_llS8_S7_S7_ll: ; @_ZN9rocsolver6v33100L35nonunit_forward_substitution_kernelI19rocblas_complex_numIdElPKPS3_EEvT0_S7_T1_S7_S7_llS8_S7_S7_ll
; %bb.0:
	s_clause 0x1
	s_load_u16 s3, s[0:1], 0x6e
	s_load_b256 s[4:11], s[0:1], 0x0
	s_bfe_u32 s2, ttmp6, 0x40010
	v_mov_b32_e32 v11, 0
	s_and_b32 s12, ttmp7, 0xffff
	s_add_co_i32 s2, s2, 1
	s_bfe_u32 s14, ttmp6, 0x40004
	s_mul_i32 s13, s12, s2
	s_getreg_b32 s2, hwreg(HW_REG_IB_STS2, 6, 4)
	v_bfe_u32 v4, v0, 10, 10
	v_mov_b32_e32 v5, v11
	s_add_co_i32 s14, s14, s13
	s_cmp_eq_u32 s2, 0
	s_cselect_b32 s12, s12, s14
	s_wait_kmcnt 0x0
	v_mad_nc_u64_u32 v[2:3], s3, s12, v[4:5]
	s_mov_b32 s3, exec_lo
	s_delay_alu instid0(VALU_DEP_1)
	v_cmpx_gt_i64_e64 s[6:7], v[2:3]
	s_cbranch_execz .LBB27_19
; %bb.1:
	s_load_b256 s[12:19], s[0:1], 0x38
	v_and_b32_e32 v10, 0x3ff, v0
	s_bfe_u32 s3, ttmp6, 0x40014
	s_lshr_b32 s6, ttmp7, 16
	s_add_co_i32 s3, s3, 1
	s_bfe_u32 s7, ttmp6, 0x40008
	s_mul_i32 s3, s6, s3
	s_delay_alu instid0(SALU_CYCLE_1)
	s_add_co_i32 s7, s7, s3
	s_cmp_eq_u32 s2, 0
	s_wait_kmcnt 0x0
	v_mul_u64_e32 v[0:1], s[14:15], v[10:11]
	v_mul_u64_e32 v[2:3], s[16:17], v[2:3]
	s_cselect_b32 s14, s6, s7
	s_lshl_b64 s[6:7], s[18:19], 4
	s_load_b64 s[2:3], s[12:13], s14 offset:0x0 scale_offset
	s_wait_kmcnt 0x0
	s_add_nc_u64 s[2:3], s[2:3], s[6:7]
	s_delay_alu instid0(VALU_DEP_2) | instid1(SALU_CYCLE_1)
	v_lshl_add_u64 v[0:1], v[0:1], 4, s[2:3]
	s_load_b128 s[0:3], s[0:1], 0x20
	s_delay_alu instid0(VALU_DEP_1)
	v_lshl_add_u64 v[8:9], v[2:3], 4, v[0:1]
	flat_load_b128 v[0:3], v[8:9]
	s_wait_kmcnt 0x0
	s_add_nc_u64 s[6:7], s[0:1], s[10:11]
	s_lshl_b64 s[2:3], s[2:3], 4
	v_mul_u64_e32 v[12:13], s[6:7], v[10:11]
	s_load_b64 s[6:7], s[8:9], s14 offset:0x0 scale_offset
	s_wait_xcnt 0x0
	v_cmp_lt_i64_e64 s8, s[4:5], 2
	s_add_nc_u64 s[4:5], s[4:5], -1
	s_and_b32 vcc_lo, exec_lo, s8
	s_wait_kmcnt 0x0
	s_add_nc_u64 s[2:3], s[6:7], s[2:3]
	s_cbranch_vccnz .LBB27_12
; %bb.2:
	v_mul_u64_e32 v[6:7], s[10:11], v[10:11]
	v_lshl_add_u64 v[16:17], v[12:13], 4, s[2:3]
	v_lshl_add_u32 v18, v4, 4, 0
	s_lshl_b64 s[0:1], s[0:1], 4
	s_mov_b64 s[6:7], 0
	s_delay_alu instid0(VALU_DEP_3) | instskip(NEXT) | instid1(VALU_DEP_1)
	v_lshl_add_u64 v[6:7], v[6:7], 4, s[2:3]
	v_add_nc_u64_e32 v[14:15], 8, v[6:7]
	s_branch .LBB27_4
.LBB27_3:                               ;   in Loop: Header=BB27_4 Depth=1
	s_or_b32 exec_lo, exec_lo, s8
	s_delay_alu instid0(VALU_DEP_2) | instskip(NEXT) | instid1(VALU_DEP_2)
	v_add_f64_e64 v[0:1], v[0:1], -v[6:7]
	v_add_f64_e64 v[2:3], v[2:3], -v[4:5]
	v_add_nc_u64_e32 v[14:15], s[0:1], v[14:15]
	s_add_nc_u64 s[6:7], s[6:7], 1
	s_delay_alu instid0(SALU_CYCLE_1)
	s_cmp_eq_u64 s[4:5], s[6:7]
	s_cbranch_scc1 .LBB27_12
.LBB27_4:                               ; =>This Inner Loop Header: Depth=1
	s_mov_b32 s8, exec_lo
	s_wait_loadcnt_dscnt 0x0
	s_barrier_signal -1
	s_barrier_wait -1
	v_cmpx_eq_u64_e64 s[6:7], v[10:11]
	s_cbranch_execz .LBB27_10
; %bb.5:                                ;   in Loop: Header=BB27_4 Depth=1
	flat_load_b128 v[4:7], v[16:17]
	s_wait_loadcnt_dscnt 0x0
	v_cmp_ngt_f64_e64 s9, |v[4:5]|, |v[6:7]|
	s_and_saveexec_b32 s10, s9
	s_delay_alu instid0(SALU_CYCLE_1)
	s_xor_b32 s9, exec_lo, s10
	s_cbranch_execz .LBB27_7
; %bb.6:                                ;   in Loop: Header=BB27_4 Depth=1
	v_div_scale_f64 v[20:21], null, v[6:7], v[6:7], v[4:5]
	v_div_scale_f64 v[26:27], vcc_lo, v[4:5], v[6:7], v[4:5]
	s_delay_alu instid0(VALU_DEP_2) | instskip(SKIP_1) | instid1(TRANS32_DEP_1)
	v_rcp_f64_e32 v[22:23], v[20:21]
	v_nop
	v_fma_f64 v[24:25], -v[20:21], v[22:23], 1.0
	s_delay_alu instid0(VALU_DEP_1) | instskip(NEXT) | instid1(VALU_DEP_1)
	v_fmac_f64_e32 v[22:23], v[22:23], v[24:25]
	v_fma_f64 v[24:25], -v[20:21], v[22:23], 1.0
	s_delay_alu instid0(VALU_DEP_1) | instskip(NEXT) | instid1(VALU_DEP_1)
	v_fmac_f64_e32 v[22:23], v[22:23], v[24:25]
	v_mul_f64_e32 v[24:25], v[26:27], v[22:23]
	s_delay_alu instid0(VALU_DEP_1) | instskip(NEXT) | instid1(VALU_DEP_1)
	v_fma_f64 v[20:21], -v[20:21], v[24:25], v[26:27]
	v_div_fmas_f64 v[20:21], v[20:21], v[22:23], v[24:25]
	s_delay_alu instid0(VALU_DEP_1) | instskip(NEXT) | instid1(VALU_DEP_1)
	v_div_fixup_f64 v[20:21], v[20:21], v[6:7], v[4:5]
	v_fmac_f64_e32 v[6:7], v[4:5], v[20:21]
	s_delay_alu instid0(VALU_DEP_1) | instskip(SKIP_1) | instid1(VALU_DEP_2)
	v_div_scale_f64 v[4:5], null, v[6:7], v[6:7], 1.0
	v_div_scale_f64 v[26:27], vcc_lo, 1.0, v[6:7], 1.0
	v_rcp_f64_e32 v[22:23], v[4:5]
	v_nop
	s_delay_alu instid0(TRANS32_DEP_1) | instskip(NEXT) | instid1(VALU_DEP_1)
	v_fma_f64 v[24:25], -v[4:5], v[22:23], 1.0
	v_fmac_f64_e32 v[22:23], v[22:23], v[24:25]
	s_delay_alu instid0(VALU_DEP_1) | instskip(NEXT) | instid1(VALU_DEP_1)
	v_fma_f64 v[24:25], -v[4:5], v[22:23], 1.0
	v_fmac_f64_e32 v[22:23], v[22:23], v[24:25]
	s_delay_alu instid0(VALU_DEP_1) | instskip(NEXT) | instid1(VALU_DEP_1)
	v_mul_f64_e32 v[24:25], v[26:27], v[22:23]
	v_fma_f64 v[4:5], -v[4:5], v[24:25], v[26:27]
	s_delay_alu instid0(VALU_DEP_1) | instskip(NEXT) | instid1(VALU_DEP_1)
	v_div_fmas_f64 v[4:5], v[4:5], v[22:23], v[24:25]
	v_div_fixup_f64 v[4:5], v[4:5], v[6:7], 1.0
	v_fma_f64 v[6:7], v[0:1], v[20:21], v[2:3]
	v_fma_f64 v[0:1], v[2:3], v[20:21], -v[0:1]
	s_delay_alu instid0(VALU_DEP_2) | instskip(NEXT) | instid1(VALU_DEP_2)
	v_mul_f64_e32 v[6:7], v[6:7], v[4:5]
	v_mul_f64_e32 v[2:3], v[0:1], v[4:5]
	s_delay_alu instid0(VALU_DEP_2)
	v_mov_b64_e32 v[0:1], v[6:7]
                                        ; implicit-def: $vgpr4_vgpr5
.LBB27_7:                               ;   in Loop: Header=BB27_4 Depth=1
	s_and_not1_saveexec_b32 s9, s9
	s_cbranch_execz .LBB27_9
; %bb.8:                                ;   in Loop: Header=BB27_4 Depth=1
	v_div_scale_f64 v[20:21], null, v[4:5], v[4:5], v[6:7]
	v_div_scale_f64 v[26:27], vcc_lo, v[6:7], v[4:5], v[6:7]
	s_delay_alu instid0(VALU_DEP_2) | instskip(SKIP_1) | instid1(TRANS32_DEP_1)
	v_rcp_f64_e32 v[22:23], v[20:21]
	v_nop
	v_fma_f64 v[24:25], -v[20:21], v[22:23], 1.0
	s_delay_alu instid0(VALU_DEP_1) | instskip(NEXT) | instid1(VALU_DEP_1)
	v_fmac_f64_e32 v[22:23], v[22:23], v[24:25]
	v_fma_f64 v[24:25], -v[20:21], v[22:23], 1.0
	s_delay_alu instid0(VALU_DEP_1) | instskip(NEXT) | instid1(VALU_DEP_1)
	v_fmac_f64_e32 v[22:23], v[22:23], v[24:25]
	v_mul_f64_e32 v[24:25], v[26:27], v[22:23]
	s_delay_alu instid0(VALU_DEP_1) | instskip(NEXT) | instid1(VALU_DEP_1)
	v_fma_f64 v[20:21], -v[20:21], v[24:25], v[26:27]
	v_div_fmas_f64 v[20:21], v[20:21], v[22:23], v[24:25]
	s_delay_alu instid0(VALU_DEP_1) | instskip(NEXT) | instid1(VALU_DEP_1)
	v_div_fixup_f64 v[20:21], v[20:21], v[4:5], v[6:7]
	v_fmac_f64_e32 v[4:5], v[6:7], v[20:21]
	s_delay_alu instid0(VALU_DEP_1) | instskip(SKIP_1) | instid1(VALU_DEP_2)
	v_div_scale_f64 v[6:7], null, v[4:5], v[4:5], 1.0
	v_div_scale_f64 v[26:27], vcc_lo, 1.0, v[4:5], 1.0
	v_rcp_f64_e32 v[22:23], v[6:7]
	v_nop
	s_delay_alu instid0(TRANS32_DEP_1) | instskip(NEXT) | instid1(VALU_DEP_1)
	v_fma_f64 v[24:25], -v[6:7], v[22:23], 1.0
	v_fmac_f64_e32 v[22:23], v[22:23], v[24:25]
	s_delay_alu instid0(VALU_DEP_1) | instskip(NEXT) | instid1(VALU_DEP_1)
	v_fma_f64 v[24:25], -v[6:7], v[22:23], 1.0
	v_fmac_f64_e32 v[22:23], v[22:23], v[24:25]
	s_delay_alu instid0(VALU_DEP_1) | instskip(NEXT) | instid1(VALU_DEP_1)
	v_mul_f64_e32 v[24:25], v[26:27], v[22:23]
	v_fma_f64 v[6:7], -v[6:7], v[24:25], v[26:27]
	s_delay_alu instid0(VALU_DEP_1) | instskip(NEXT) | instid1(VALU_DEP_1)
	v_div_fmas_f64 v[6:7], v[6:7], v[22:23], v[24:25]
	v_div_fixup_f64 v[4:5], v[6:7], v[4:5], 1.0
	v_fma_f64 v[6:7], v[2:3], v[20:21], v[0:1]
	v_fma_f64 v[0:1], -v[0:1], v[20:21], v[2:3]
	s_delay_alu instid0(VALU_DEP_2) | instskip(NEXT) | instid1(VALU_DEP_2)
	v_mul_f64_e32 v[6:7], v[6:7], v[4:5]
	v_mul_f64_e32 v[2:3], v[0:1], v[4:5]
	s_delay_alu instid0(VALU_DEP_2)
	v_mov_b64_e32 v[0:1], v[6:7]
.LBB27_9:                               ;   in Loop: Header=BB27_4 Depth=1
	s_or_b32 exec_lo, exec_lo, s9
	ds_store_2addr_b64 v18, v[0:1], v[2:3] offset1:1
.LBB27_10:                              ;   in Loop: Header=BB27_4 Depth=1
	s_or_b32 exec_lo, exec_lo, s8
	v_mov_b64_e32 v[4:5], 0
	v_mov_b64_e32 v[6:7], 0
	s_mov_b32 s8, exec_lo
	s_wait_dscnt 0x0
	s_barrier_signal -1
	s_barrier_wait -1
	v_cmpx_lt_u64_e64 s[6:7], v[10:11]
	s_cbranch_execz .LBB27_3
; %bb.11:                               ;   in Loop: Header=BB27_4 Depth=1
	flat_load_b128 v[20:23], v[14:15] offset:-8
	ds_load_2addr_b64 v[24:27], v18 offset1:1
	s_wait_loadcnt_dscnt 0x0
	v_mul_f64_e32 v[6:7], v[26:27], v[22:23]
	v_mul_f64_e32 v[4:5], v[24:25], v[22:23]
	s_delay_alu instid0(VALU_DEP_2) | instskip(NEXT) | instid1(VALU_DEP_2)
	v_fma_f64 v[6:7], v[24:25], v[20:21], -v[6:7]
	v_fmac_f64_e32 v[4:5], v[26:27], v[20:21]
	s_branch .LBB27_3
.LBB27_12:
	s_mov_b32 s0, exec_lo
	v_cmpx_eq_u64_e64 s[4:5], v[10:11]
	s_cbranch_execz .LBB27_18
; %bb.13:
	v_lshl_add_u64 v[4:5], v[12:13], 4, s[2:3]
	flat_load_b128 v[4:7], v[4:5]
	s_wait_loadcnt_dscnt 0x0
	v_cmp_ngt_f64_e64 s1, |v[4:5]|, |v[6:7]|
	s_and_saveexec_b32 s2, s1
	s_delay_alu instid0(SALU_CYCLE_1)
	s_xor_b32 s1, exec_lo, s2
	s_cbranch_execz .LBB27_15
; %bb.14:
	v_div_scale_f64 v[10:11], null, v[6:7], v[6:7], v[4:5]
	v_div_scale_f64 v[16:17], vcc_lo, v[4:5], v[6:7], v[4:5]
	s_delay_alu instid0(VALU_DEP_2) | instskip(SKIP_1) | instid1(TRANS32_DEP_1)
	v_rcp_f64_e32 v[12:13], v[10:11]
	v_nop
	v_fma_f64 v[14:15], -v[10:11], v[12:13], 1.0
	s_delay_alu instid0(VALU_DEP_1) | instskip(NEXT) | instid1(VALU_DEP_1)
	v_fmac_f64_e32 v[12:13], v[12:13], v[14:15]
	v_fma_f64 v[14:15], -v[10:11], v[12:13], 1.0
	s_delay_alu instid0(VALU_DEP_1) | instskip(NEXT) | instid1(VALU_DEP_1)
	v_fmac_f64_e32 v[12:13], v[12:13], v[14:15]
	v_mul_f64_e32 v[14:15], v[16:17], v[12:13]
	s_delay_alu instid0(VALU_DEP_1) | instskip(NEXT) | instid1(VALU_DEP_1)
	v_fma_f64 v[10:11], -v[10:11], v[14:15], v[16:17]
	v_div_fmas_f64 v[10:11], v[10:11], v[12:13], v[14:15]
	s_delay_alu instid0(VALU_DEP_1) | instskip(NEXT) | instid1(VALU_DEP_1)
	v_div_fixup_f64 v[10:11], v[10:11], v[6:7], v[4:5]
	v_fmac_f64_e32 v[6:7], v[4:5], v[10:11]
	s_delay_alu instid0(VALU_DEP_1) | instskip(SKIP_1) | instid1(VALU_DEP_2)
	v_div_scale_f64 v[4:5], null, v[6:7], v[6:7], 1.0
	v_div_scale_f64 v[16:17], vcc_lo, 1.0, v[6:7], 1.0
	v_rcp_f64_e32 v[12:13], v[4:5]
	v_nop
	s_delay_alu instid0(TRANS32_DEP_1) | instskip(NEXT) | instid1(VALU_DEP_1)
	v_fma_f64 v[14:15], -v[4:5], v[12:13], 1.0
	v_fmac_f64_e32 v[12:13], v[12:13], v[14:15]
	s_delay_alu instid0(VALU_DEP_1) | instskip(NEXT) | instid1(VALU_DEP_1)
	v_fma_f64 v[14:15], -v[4:5], v[12:13], 1.0
	v_fmac_f64_e32 v[12:13], v[12:13], v[14:15]
	s_delay_alu instid0(VALU_DEP_1) | instskip(NEXT) | instid1(VALU_DEP_1)
	v_mul_f64_e32 v[14:15], v[16:17], v[12:13]
	v_fma_f64 v[4:5], -v[4:5], v[14:15], v[16:17]
	s_delay_alu instid0(VALU_DEP_1) | instskip(NEXT) | instid1(VALU_DEP_1)
	v_div_fmas_f64 v[4:5], v[4:5], v[12:13], v[14:15]
	v_div_fixup_f64 v[4:5], v[4:5], v[6:7], 1.0
	v_fma_f64 v[6:7], v[0:1], v[10:11], v[2:3]
	v_fma_f64 v[0:1], v[2:3], v[10:11], -v[0:1]
	s_delay_alu instid0(VALU_DEP_2) | instskip(NEXT) | instid1(VALU_DEP_2)
	v_mul_f64_e32 v[6:7], v[6:7], v[4:5]
	v_mul_f64_e32 v[2:3], v[0:1], v[4:5]
	s_delay_alu instid0(VALU_DEP_2)
	v_mov_b64_e32 v[0:1], v[6:7]
                                        ; implicit-def: $vgpr4_vgpr5
.LBB27_15:
	s_and_not1_saveexec_b32 s1, s1
	s_cbranch_execz .LBB27_17
; %bb.16:
	v_div_scale_f64 v[10:11], null, v[4:5], v[4:5], v[6:7]
	v_div_scale_f64 v[16:17], vcc_lo, v[6:7], v[4:5], v[6:7]
	s_delay_alu instid0(VALU_DEP_2) | instskip(SKIP_1) | instid1(TRANS32_DEP_1)
	v_rcp_f64_e32 v[12:13], v[10:11]
	v_nop
	v_fma_f64 v[14:15], -v[10:11], v[12:13], 1.0
	s_delay_alu instid0(VALU_DEP_1) | instskip(NEXT) | instid1(VALU_DEP_1)
	v_fmac_f64_e32 v[12:13], v[12:13], v[14:15]
	v_fma_f64 v[14:15], -v[10:11], v[12:13], 1.0
	s_delay_alu instid0(VALU_DEP_1) | instskip(NEXT) | instid1(VALU_DEP_1)
	v_fmac_f64_e32 v[12:13], v[12:13], v[14:15]
	v_mul_f64_e32 v[14:15], v[16:17], v[12:13]
	s_delay_alu instid0(VALU_DEP_1) | instskip(NEXT) | instid1(VALU_DEP_1)
	v_fma_f64 v[10:11], -v[10:11], v[14:15], v[16:17]
	v_div_fmas_f64 v[10:11], v[10:11], v[12:13], v[14:15]
	s_delay_alu instid0(VALU_DEP_1) | instskip(NEXT) | instid1(VALU_DEP_1)
	v_div_fixup_f64 v[10:11], v[10:11], v[4:5], v[6:7]
	v_fmac_f64_e32 v[4:5], v[6:7], v[10:11]
	s_delay_alu instid0(VALU_DEP_1) | instskip(SKIP_1) | instid1(VALU_DEP_2)
	v_div_scale_f64 v[6:7], null, v[4:5], v[4:5], 1.0
	v_div_scale_f64 v[16:17], vcc_lo, 1.0, v[4:5], 1.0
	v_rcp_f64_e32 v[12:13], v[6:7]
	v_nop
	s_delay_alu instid0(TRANS32_DEP_1) | instskip(NEXT) | instid1(VALU_DEP_1)
	v_fma_f64 v[14:15], -v[6:7], v[12:13], 1.0
	v_fmac_f64_e32 v[12:13], v[12:13], v[14:15]
	s_delay_alu instid0(VALU_DEP_1) | instskip(NEXT) | instid1(VALU_DEP_1)
	v_fma_f64 v[14:15], -v[6:7], v[12:13], 1.0
	v_fmac_f64_e32 v[12:13], v[12:13], v[14:15]
	s_delay_alu instid0(VALU_DEP_1) | instskip(NEXT) | instid1(VALU_DEP_1)
	v_mul_f64_e32 v[14:15], v[16:17], v[12:13]
	v_fma_f64 v[6:7], -v[6:7], v[14:15], v[16:17]
	s_delay_alu instid0(VALU_DEP_1) | instskip(NEXT) | instid1(VALU_DEP_1)
	v_div_fmas_f64 v[6:7], v[6:7], v[12:13], v[14:15]
	v_div_fixup_f64 v[4:5], v[6:7], v[4:5], 1.0
	v_fma_f64 v[6:7], v[2:3], v[10:11], v[0:1]
	v_fma_f64 v[0:1], -v[0:1], v[10:11], v[2:3]
	s_delay_alu instid0(VALU_DEP_2) | instskip(NEXT) | instid1(VALU_DEP_2)
	v_mul_f64_e32 v[6:7], v[6:7], v[4:5]
	v_mul_f64_e32 v[2:3], v[0:1], v[4:5]
	s_delay_alu instid0(VALU_DEP_2)
	v_mov_b64_e32 v[0:1], v[6:7]
.LBB27_17:
	s_or_b32 exec_lo, exec_lo, s1
.LBB27_18:
	s_delay_alu instid0(SALU_CYCLE_1)
	s_or_b32 exec_lo, exec_lo, s0
	s_wait_loadcnt_dscnt 0x0
	flat_store_b128 v[8:9], v[0:3]
.LBB27_19:
	s_endpgm
	.section	.rodata,"a",@progbits
	.p2align	6, 0x0
	.amdhsa_kernel _ZN9rocsolver6v33100L35nonunit_forward_substitution_kernelI19rocblas_complex_numIdElPKPS3_EEvT0_S7_T1_S7_S7_llS8_S7_S7_ll
		.amdhsa_group_segment_fixed_size 0
		.amdhsa_private_segment_fixed_size 0
		.amdhsa_kernarg_size 352
		.amdhsa_user_sgpr_count 2
		.amdhsa_user_sgpr_dispatch_ptr 0
		.amdhsa_user_sgpr_queue_ptr 0
		.amdhsa_user_sgpr_kernarg_segment_ptr 1
		.amdhsa_user_sgpr_dispatch_id 0
		.amdhsa_user_sgpr_kernarg_preload_length 0
		.amdhsa_user_sgpr_kernarg_preload_offset 0
		.amdhsa_user_sgpr_private_segment_size 0
		.amdhsa_wavefront_size32 1
		.amdhsa_uses_dynamic_stack 0
		.amdhsa_enable_private_segment 0
		.amdhsa_system_sgpr_workgroup_id_x 1
		.amdhsa_system_sgpr_workgroup_id_y 1
		.amdhsa_system_sgpr_workgroup_id_z 1
		.amdhsa_system_sgpr_workgroup_info 0
		.amdhsa_system_vgpr_workitem_id 1
		.amdhsa_next_free_vgpr 28
		.amdhsa_next_free_sgpr 20
		.amdhsa_named_barrier_count 0
		.amdhsa_reserve_vcc 1
		.amdhsa_float_round_mode_32 0
		.amdhsa_float_round_mode_16_64 0
		.amdhsa_float_denorm_mode_32 3
		.amdhsa_float_denorm_mode_16_64 3
		.amdhsa_fp16_overflow 0
		.amdhsa_memory_ordered 1
		.amdhsa_forward_progress 1
		.amdhsa_inst_pref_size 13
		.amdhsa_round_robin_scheduling 0
		.amdhsa_exception_fp_ieee_invalid_op 0
		.amdhsa_exception_fp_denorm_src 0
		.amdhsa_exception_fp_ieee_div_zero 0
		.amdhsa_exception_fp_ieee_overflow 0
		.amdhsa_exception_fp_ieee_underflow 0
		.amdhsa_exception_fp_ieee_inexact 0
		.amdhsa_exception_int_div_zero 0
	.end_amdhsa_kernel
	.section	.text._ZN9rocsolver6v33100L35nonunit_forward_substitution_kernelI19rocblas_complex_numIdElPKPS3_EEvT0_S7_T1_S7_S7_llS8_S7_S7_ll,"axG",@progbits,_ZN9rocsolver6v33100L35nonunit_forward_substitution_kernelI19rocblas_complex_numIdElPKPS3_EEvT0_S7_T1_S7_S7_llS8_S7_S7_ll,comdat
.Lfunc_end27:
	.size	_ZN9rocsolver6v33100L35nonunit_forward_substitution_kernelI19rocblas_complex_numIdElPKPS3_EEvT0_S7_T1_S7_S7_llS8_S7_S7_ll, .Lfunc_end27-_ZN9rocsolver6v33100L35nonunit_forward_substitution_kernelI19rocblas_complex_numIdElPKPS3_EEvT0_S7_T1_S7_S7_llS8_S7_S7_ll
                                        ; -- End function
	.set _ZN9rocsolver6v33100L35nonunit_forward_substitution_kernelI19rocblas_complex_numIdElPKPS3_EEvT0_S7_T1_S7_S7_llS8_S7_S7_ll.num_vgpr, 28
	.set _ZN9rocsolver6v33100L35nonunit_forward_substitution_kernelI19rocblas_complex_numIdElPKPS3_EEvT0_S7_T1_S7_S7_llS8_S7_S7_ll.num_agpr, 0
	.set _ZN9rocsolver6v33100L35nonunit_forward_substitution_kernelI19rocblas_complex_numIdElPKPS3_EEvT0_S7_T1_S7_S7_llS8_S7_S7_ll.numbered_sgpr, 20
	.set _ZN9rocsolver6v33100L35nonunit_forward_substitution_kernelI19rocblas_complex_numIdElPKPS3_EEvT0_S7_T1_S7_S7_llS8_S7_S7_ll.num_named_barrier, 0
	.set _ZN9rocsolver6v33100L35nonunit_forward_substitution_kernelI19rocblas_complex_numIdElPKPS3_EEvT0_S7_T1_S7_S7_llS8_S7_S7_ll.private_seg_size, 0
	.set _ZN9rocsolver6v33100L35nonunit_forward_substitution_kernelI19rocblas_complex_numIdElPKPS3_EEvT0_S7_T1_S7_S7_llS8_S7_S7_ll.uses_vcc, 1
	.set _ZN9rocsolver6v33100L35nonunit_forward_substitution_kernelI19rocblas_complex_numIdElPKPS3_EEvT0_S7_T1_S7_S7_llS8_S7_S7_ll.uses_flat_scratch, 0
	.set _ZN9rocsolver6v33100L35nonunit_forward_substitution_kernelI19rocblas_complex_numIdElPKPS3_EEvT0_S7_T1_S7_S7_llS8_S7_S7_ll.has_dyn_sized_stack, 0
	.set _ZN9rocsolver6v33100L35nonunit_forward_substitution_kernelI19rocblas_complex_numIdElPKPS3_EEvT0_S7_T1_S7_S7_llS8_S7_S7_ll.has_recursion, 0
	.set _ZN9rocsolver6v33100L35nonunit_forward_substitution_kernelI19rocblas_complex_numIdElPKPS3_EEvT0_S7_T1_S7_S7_llS8_S7_S7_ll.has_indirect_call, 0
	.section	.AMDGPU.csdata,"",@progbits
; Kernel info:
; codeLenInByte = 1612
; TotalNumSgprs: 22
; NumVgprs: 28
; ScratchSize: 0
; MemoryBound: 0
; FloatMode: 240
; IeeeMode: 1
; LDSByteSize: 0 bytes/workgroup (compile time only)
; SGPRBlocks: 0
; VGPRBlocks: 1
; NumSGPRsForWavesPerEU: 22
; NumVGPRsForWavesPerEU: 28
; NamedBarCnt: 0
; Occupancy: 16
; WaveLimiterHint : 1
; COMPUTE_PGM_RSRC2:SCRATCH_EN: 0
; COMPUTE_PGM_RSRC2:USER_SGPR: 2
; COMPUTE_PGM_RSRC2:TRAP_HANDLER: 0
; COMPUTE_PGM_RSRC2:TGID_X_EN: 1
; COMPUTE_PGM_RSRC2:TGID_Y_EN: 1
; COMPUTE_PGM_RSRC2:TGID_Z_EN: 1
; COMPUTE_PGM_RSRC2:TIDIG_COMP_CNT: 1
	.section	.text._ZN9rocsolver6v33100L38conj_unit_backward_substitution_kernelI19rocblas_complex_numIdElPKPS3_EEvT0_S7_T1_S7_S7_llS8_S7_S7_ll,"axG",@progbits,_ZN9rocsolver6v33100L38conj_unit_backward_substitution_kernelI19rocblas_complex_numIdElPKPS3_EEvT0_S7_T1_S7_S7_llS8_S7_S7_ll,comdat
	.globl	_ZN9rocsolver6v33100L38conj_unit_backward_substitution_kernelI19rocblas_complex_numIdElPKPS3_EEvT0_S7_T1_S7_S7_llS8_S7_S7_ll ; -- Begin function _ZN9rocsolver6v33100L38conj_unit_backward_substitution_kernelI19rocblas_complex_numIdElPKPS3_EEvT0_S7_T1_S7_S7_llS8_S7_S7_ll
	.p2align	8
	.type	_ZN9rocsolver6v33100L38conj_unit_backward_substitution_kernelI19rocblas_complex_numIdElPKPS3_EEvT0_S7_T1_S7_S7_llS8_S7_S7_ll,@function
_ZN9rocsolver6v33100L38conj_unit_backward_substitution_kernelI19rocblas_complex_numIdElPKPS3_EEvT0_S7_T1_S7_S7_llS8_S7_S7_ll: ; @_ZN9rocsolver6v33100L38conj_unit_backward_substitution_kernelI19rocblas_complex_numIdElPKPS3_EEvT0_S7_T1_S7_S7_llS8_S7_S7_ll
; %bb.0:
	s_clause 0x1
	s_load_u16 s3, s[0:1], 0x6e
	s_load_b256 s[4:11], s[0:1], 0x0
	s_bfe_u32 s2, ttmp6, 0x40010
	v_mov_b32_e32 v5, 0
	s_and_b32 s12, ttmp7, 0xffff
	s_add_co_i32 s2, s2, 1
	s_bfe_u32 s14, ttmp6, 0x40004
	s_mul_i32 s13, s12, s2
	s_getreg_b32 s2, hwreg(HW_REG_IB_STS2, 6, 4)
	v_bfe_u32 v8, v0, 10, 10
	v_mov_b32_e32 v9, v5
	s_add_co_i32 s14, s14, s13
	s_cmp_eq_u32 s2, 0
	s_cselect_b32 s12, s12, s14
	s_wait_kmcnt 0x0
	v_mad_nc_u64_u32 v[2:3], s3, s12, v[8:9]
	s_mov_b32 s3, exec_lo
	s_delay_alu instid0(VALU_DEP_1)
	v_cmpx_gt_i64_e64 s[6:7], v[2:3]
	s_cbranch_execz .LBB28_9
; %bb.1:
	s_load_b256 s[12:19], s[0:1], 0x38
	v_and_b32_e32 v4, 0x3ff, v0
	s_bfe_u32 s3, ttmp6, 0x40014
	s_lshr_b32 s6, ttmp7, 16
	s_add_co_i32 s3, s3, 1
	s_bfe_u32 s7, ttmp6, 0x40008
	s_mul_i32 s3, s6, s3
	s_delay_alu instid0(SALU_CYCLE_1)
	s_add_co_i32 s7, s7, s3
	s_cmp_eq_u32 s2, 0
	s_cselect_b32 s6, s6, s7
	v_cmp_lt_i64_e64 s7, s[4:5], 2
	s_and_b32 vcc_lo, exec_lo, s7
	s_wait_kmcnt 0x0
	v_mul_u64_e32 v[0:1], s[14:15], v[4:5]
	v_mul_u64_e32 v[2:3], s[16:17], v[2:3]
	s_load_b64 s[2:3], s[12:13], s6 offset:0x0 scale_offset
	s_wait_xcnt 0x0
	s_lshl_b64 s[12:13], s[18:19], 4
	s_wait_kmcnt 0x0
	s_add_nc_u64 s[2:3], s[2:3], s[12:13]
	s_delay_alu instid0(VALU_DEP_2) | instid1(SALU_CYCLE_1)
	v_lshl_add_u64 v[0:1], v[0:1], 4, s[2:3]
	s_load_b128 s[0:3], s[0:1], 0x20
	s_delay_alu instid0(VALU_DEP_1)
	v_lshl_add_u64 v[6:7], v[2:3], 4, v[0:1]
	flat_load_b128 v[0:3], v[6:7]
	s_cbranch_vccnz .LBB28_8
; %bb.2:
	v_mul_u64_e32 v[10:11], s[10:11], v[4:5]
	s_load_b64 s[6:7], s[8:9], s6 offset:0x0 scale_offset
	s_add_nc_u64 s[4:5], s[4:5], -1
	s_wait_kmcnt 0x0
	s_lshl_b64 s[2:3], s[2:3], 4
	s_mul_u64 s[8:9], s[0:1], s[4:5]
	v_lshl_add_u32 v14, v8, 4, 0
	s_lshl_b64 s[8:9], s[8:9], 4
	s_lshl_b64 s[0:1], s[0:1], 4
	s_delay_alu instid0(SALU_CYCLE_1) | instskip(SKIP_1) | instid1(SALU_CYCLE_1)
	s_sub_nc_u64 s[0:1], 0, s[0:1]
	s_add_nc_u64 s[2:3], s[6:7], s[2:3]
	s_add_nc_u64 s[2:3], s[2:3], s[8:9]
	s_delay_alu instid0(VALU_DEP_2) | instid1(SALU_CYCLE_1)
	v_lshl_add_u64 v[10:11], v[10:11], 4, s[2:3]
	s_delay_alu instid0(VALU_DEP_1)
	v_add_nc_u64_e32 v[10:11], 8, v[10:11]
	s_branch .LBB28_4
.LBB28_3:                               ;   in Loop: Header=BB28_4 Depth=1
	s_or_b32 exec_lo, exec_lo, s2
	s_delay_alu instid0(VALU_DEP_2) | instskip(NEXT) | instid1(VALU_DEP_2)
	v_add_f64_e64 v[0:1], v[0:1], -v[8:9]
	v_add_f64_e64 v[2:3], v[2:3], -v[12:13]
	s_add_nc_u64 s[2:3], s[4:5], 1
	v_add_nc_u64_e32 v[10:11], s[0:1], v[10:11]
	v_cmp_lt_u64_e64 s2, s[2:3], 3
	s_add_nc_u64 s[4:5], s[4:5], -1
	s_and_b32 vcc_lo, exec_lo, s2
	s_cbranch_vccnz .LBB28_8
.LBB28_4:                               ; =>This Inner Loop Header: Depth=1
	s_mov_b32 s2, exec_lo
	s_wait_loadcnt_dscnt 0x0
	s_barrier_signal -1
	s_barrier_wait -1
	v_cmpx_eq_u64_e64 s[4:5], v[4:5]
; %bb.5:                                ;   in Loop: Header=BB28_4 Depth=1
	ds_store_2addr_b64 v14, v[0:1], v[2:3] offset1:1
; %bb.6:                                ;   in Loop: Header=BB28_4 Depth=1
	s_or_b32 exec_lo, exec_lo, s2
	v_mov_b64_e32 v[12:13], 0
	v_mov_b64_e32 v[8:9], 0
	s_mov_b32 s2, exec_lo
	s_wait_dscnt 0x0
	s_barrier_signal -1
	s_barrier_wait -1
	v_cmpx_gt_i64_e64 s[4:5], v[4:5]
	s_cbranch_execz .LBB28_3
; %bb.7:                                ;   in Loop: Header=BB28_4 Depth=1
	flat_load_b128 v[16:19], v[10:11] offset:-8
	ds_load_2addr_b64 v[20:23], v14 offset1:1
	s_wait_loadcnt_dscnt 0x0
	v_mul_f64_e32 v[8:9], v[18:19], v[22:23]
	v_mul_f64_e32 v[12:13], v[18:19], v[20:21]
	s_delay_alu instid0(VALU_DEP_2) | instskip(NEXT) | instid1(VALU_DEP_2)
	v_fmac_f64_e32 v[8:9], v[16:17], v[20:21]
	v_fma_f64 v[12:13], v[16:17], v[22:23], -v[12:13]
	s_branch .LBB28_3
.LBB28_8:
	s_wait_loadcnt_dscnt 0x0
	flat_store_b128 v[6:7], v[0:3]
.LBB28_9:
	s_endpgm
	.section	.rodata,"a",@progbits
	.p2align	6, 0x0
	.amdhsa_kernel _ZN9rocsolver6v33100L38conj_unit_backward_substitution_kernelI19rocblas_complex_numIdElPKPS3_EEvT0_S7_T1_S7_S7_llS8_S7_S7_ll
		.amdhsa_group_segment_fixed_size 0
		.amdhsa_private_segment_fixed_size 0
		.amdhsa_kernarg_size 352
		.amdhsa_user_sgpr_count 2
		.amdhsa_user_sgpr_dispatch_ptr 0
		.amdhsa_user_sgpr_queue_ptr 0
		.amdhsa_user_sgpr_kernarg_segment_ptr 1
		.amdhsa_user_sgpr_dispatch_id 0
		.amdhsa_user_sgpr_kernarg_preload_length 0
		.amdhsa_user_sgpr_kernarg_preload_offset 0
		.amdhsa_user_sgpr_private_segment_size 0
		.amdhsa_wavefront_size32 1
		.amdhsa_uses_dynamic_stack 0
		.amdhsa_enable_private_segment 0
		.amdhsa_system_sgpr_workgroup_id_x 1
		.amdhsa_system_sgpr_workgroup_id_y 1
		.amdhsa_system_sgpr_workgroup_id_z 1
		.amdhsa_system_sgpr_workgroup_info 0
		.amdhsa_system_vgpr_workitem_id 1
		.amdhsa_next_free_vgpr 24
		.amdhsa_next_free_sgpr 20
		.amdhsa_named_barrier_count 0
		.amdhsa_reserve_vcc 1
		.amdhsa_float_round_mode_32 0
		.amdhsa_float_round_mode_16_64 0
		.amdhsa_float_denorm_mode_32 3
		.amdhsa_float_denorm_mode_16_64 3
		.amdhsa_fp16_overflow 0
		.amdhsa_memory_ordered 1
		.amdhsa_forward_progress 1
		.amdhsa_inst_pref_size 5
		.amdhsa_round_robin_scheduling 0
		.amdhsa_exception_fp_ieee_invalid_op 0
		.amdhsa_exception_fp_denorm_src 0
		.amdhsa_exception_fp_ieee_div_zero 0
		.amdhsa_exception_fp_ieee_overflow 0
		.amdhsa_exception_fp_ieee_underflow 0
		.amdhsa_exception_fp_ieee_inexact 0
		.amdhsa_exception_int_div_zero 0
	.end_amdhsa_kernel
	.section	.text._ZN9rocsolver6v33100L38conj_unit_backward_substitution_kernelI19rocblas_complex_numIdElPKPS3_EEvT0_S7_T1_S7_S7_llS8_S7_S7_ll,"axG",@progbits,_ZN9rocsolver6v33100L38conj_unit_backward_substitution_kernelI19rocblas_complex_numIdElPKPS3_EEvT0_S7_T1_S7_S7_llS8_S7_S7_ll,comdat
.Lfunc_end28:
	.size	_ZN9rocsolver6v33100L38conj_unit_backward_substitution_kernelI19rocblas_complex_numIdElPKPS3_EEvT0_S7_T1_S7_S7_llS8_S7_S7_ll, .Lfunc_end28-_ZN9rocsolver6v33100L38conj_unit_backward_substitution_kernelI19rocblas_complex_numIdElPKPS3_EEvT0_S7_T1_S7_S7_llS8_S7_S7_ll
                                        ; -- End function
	.set _ZN9rocsolver6v33100L38conj_unit_backward_substitution_kernelI19rocblas_complex_numIdElPKPS3_EEvT0_S7_T1_S7_S7_llS8_S7_S7_ll.num_vgpr, 24
	.set _ZN9rocsolver6v33100L38conj_unit_backward_substitution_kernelI19rocblas_complex_numIdElPKPS3_EEvT0_S7_T1_S7_S7_llS8_S7_S7_ll.num_agpr, 0
	.set _ZN9rocsolver6v33100L38conj_unit_backward_substitution_kernelI19rocblas_complex_numIdElPKPS3_EEvT0_S7_T1_S7_S7_llS8_S7_S7_ll.numbered_sgpr, 20
	.set _ZN9rocsolver6v33100L38conj_unit_backward_substitution_kernelI19rocblas_complex_numIdElPKPS3_EEvT0_S7_T1_S7_S7_llS8_S7_S7_ll.num_named_barrier, 0
	.set _ZN9rocsolver6v33100L38conj_unit_backward_substitution_kernelI19rocblas_complex_numIdElPKPS3_EEvT0_S7_T1_S7_S7_llS8_S7_S7_ll.private_seg_size, 0
	.set _ZN9rocsolver6v33100L38conj_unit_backward_substitution_kernelI19rocblas_complex_numIdElPKPS3_EEvT0_S7_T1_S7_S7_llS8_S7_S7_ll.uses_vcc, 1
	.set _ZN9rocsolver6v33100L38conj_unit_backward_substitution_kernelI19rocblas_complex_numIdElPKPS3_EEvT0_S7_T1_S7_S7_llS8_S7_S7_ll.uses_flat_scratch, 0
	.set _ZN9rocsolver6v33100L38conj_unit_backward_substitution_kernelI19rocblas_complex_numIdElPKPS3_EEvT0_S7_T1_S7_S7_llS8_S7_S7_ll.has_dyn_sized_stack, 0
	.set _ZN9rocsolver6v33100L38conj_unit_backward_substitution_kernelI19rocblas_complex_numIdElPKPS3_EEvT0_S7_T1_S7_S7_llS8_S7_S7_ll.has_recursion, 0
	.set _ZN9rocsolver6v33100L38conj_unit_backward_substitution_kernelI19rocblas_complex_numIdElPKPS3_EEvT0_S7_T1_S7_S7_llS8_S7_S7_ll.has_indirect_call, 0
	.section	.AMDGPU.csdata,"",@progbits
; Kernel info:
; codeLenInByte = 552
; TotalNumSgprs: 22
; NumVgprs: 24
; ScratchSize: 0
; MemoryBound: 0
; FloatMode: 240
; IeeeMode: 1
; LDSByteSize: 0 bytes/workgroup (compile time only)
; SGPRBlocks: 0
; VGPRBlocks: 1
; NumSGPRsForWavesPerEU: 22
; NumVGPRsForWavesPerEU: 24
; NamedBarCnt: 0
; Occupancy: 16
; WaveLimiterHint : 1
; COMPUTE_PGM_RSRC2:SCRATCH_EN: 0
; COMPUTE_PGM_RSRC2:USER_SGPR: 2
; COMPUTE_PGM_RSRC2:TRAP_HANDLER: 0
; COMPUTE_PGM_RSRC2:TGID_X_EN: 1
; COMPUTE_PGM_RSRC2:TGID_Y_EN: 1
; COMPUTE_PGM_RSRC2:TGID_Z_EN: 1
; COMPUTE_PGM_RSRC2:TIDIG_COMP_CNT: 1
	.section	.text._ZN9rocsolver6v33100L41conj_nonunit_backward_substitution_kernelI19rocblas_complex_numIdElPKPS3_EEvT0_S7_T1_S7_S7_llS8_S7_S7_ll,"axG",@progbits,_ZN9rocsolver6v33100L41conj_nonunit_backward_substitution_kernelI19rocblas_complex_numIdElPKPS3_EEvT0_S7_T1_S7_S7_llS8_S7_S7_ll,comdat
	.globl	_ZN9rocsolver6v33100L41conj_nonunit_backward_substitution_kernelI19rocblas_complex_numIdElPKPS3_EEvT0_S7_T1_S7_S7_llS8_S7_S7_ll ; -- Begin function _ZN9rocsolver6v33100L41conj_nonunit_backward_substitution_kernelI19rocblas_complex_numIdElPKPS3_EEvT0_S7_T1_S7_S7_llS8_S7_S7_ll
	.p2align	8
	.type	_ZN9rocsolver6v33100L41conj_nonunit_backward_substitution_kernelI19rocblas_complex_numIdElPKPS3_EEvT0_S7_T1_S7_S7_llS8_S7_S7_ll,@function
_ZN9rocsolver6v33100L41conj_nonunit_backward_substitution_kernelI19rocblas_complex_numIdElPKPS3_EEvT0_S7_T1_S7_S7_llS8_S7_S7_ll: ; @_ZN9rocsolver6v33100L41conj_nonunit_backward_substitution_kernelI19rocblas_complex_numIdElPKPS3_EEvT0_S7_T1_S7_S7_llS8_S7_S7_ll
; %bb.0:
	s_clause 0x1
	s_load_u16 s3, s[0:1], 0x6e
	s_load_b256 s[4:11], s[0:1], 0x0
	s_bfe_u32 s2, ttmp6, 0x40010
	v_mov_b32_e32 v11, 0
	s_and_b32 s12, ttmp7, 0xffff
	s_add_co_i32 s2, s2, 1
	s_bfe_u32 s14, ttmp6, 0x40004
	s_mul_i32 s13, s12, s2
	s_getreg_b32 s2, hwreg(HW_REG_IB_STS2, 6, 4)
	v_bfe_u32 v4, v0, 10, 10
	v_mov_b32_e32 v5, v11
	s_add_co_i32 s14, s14, s13
	s_cmp_eq_u32 s2, 0
	s_cselect_b32 s12, s12, s14
	s_wait_kmcnt 0x0
	v_mad_nc_u64_u32 v[2:3], s3, s12, v[4:5]
	s_mov_b32 s3, exec_lo
	s_delay_alu instid0(VALU_DEP_1)
	v_cmpx_gt_i64_e64 s[6:7], v[2:3]
	s_cbranch_execz .LBB29_19
; %bb.1:
	s_load_b256 s[12:19], s[0:1], 0x38
	v_and_b32_e32 v10, 0x3ff, v0
	s_bfe_u32 s3, ttmp6, 0x40014
	s_lshr_b32 s6, ttmp7, 16
	s_add_co_i32 s3, s3, 1
	s_bfe_u32 s7, ttmp6, 0x40008
	s_mul_i32 s3, s6, s3
	s_delay_alu instid0(SALU_CYCLE_1)
	s_add_co_i32 s7, s7, s3
	s_cmp_eq_u32 s2, 0
	s_wait_kmcnt 0x0
	v_mul_u64_e32 v[0:1], s[14:15], v[10:11]
	v_mul_u64_e32 v[2:3], s[16:17], v[2:3]
	s_cselect_b32 s16, s6, s7
	s_lshl_b64 s[6:7], s[18:19], 4
	s_load_b64 s[2:3], s[12:13], s16 offset:0x0 scale_offset
	s_wait_kmcnt 0x0
	s_add_nc_u64 s[2:3], s[2:3], s[6:7]
	v_cmp_lt_i64_e64 s6, s[4:5], 2
	s_and_b32 vcc_lo, exec_lo, s6
	v_lshl_add_u64 v[0:1], v[0:1], 4, s[2:3]
	s_delay_alu instid0(VALU_DEP_1)
	v_lshl_add_u64 v[8:9], v[2:3], 4, v[0:1]
	flat_load_b128 v[0:3], v[8:9]
	s_load_b128 s[12:15], s[0:1], 0x20
	s_load_b64 s[2:3], s[8:9], s16 offset:0x0 scale_offset
	s_wait_kmcnt 0x0
	s_lshl_b64 s[0:1], s[14:15], 4
	s_delay_alu instid0(SALU_CYCLE_1)
	s_add_nc_u64 s[0:1], s[2:3], s[0:1]
	s_cbranch_vccnz .LBB29_12
; %bb.2:
	v_mul_u64_e32 v[6:7], s[10:11], v[10:11]
	s_add_nc_u64 s[2:3], s[12:13], s[10:11]
	v_lshl_add_u32 v16, v4, 4, 0
	v_mul_u64_e32 v[14:15], s[2:3], v[10:11]
	s_add_nc_u64 s[2:3], s[4:5], -1
	s_delay_alu instid0(SALU_CYCLE_1) | instskip(NEXT) | instid1(SALU_CYCLE_1)
	s_mul_u64 s[4:5], s[12:13], s[2:3]
	s_lshl_b64 s[4:5], s[4:5], 4
	s_delay_alu instid0(SALU_CYCLE_1)
	s_add_nc_u64 s[4:5], s[0:1], s[4:5]
	s_delay_alu instid0(VALU_DEP_3) | instid1(SALU_CYCLE_1)
	v_lshl_add_u64 v[6:7], v[6:7], 4, s[4:5]
	s_lshl_b64 s[4:5], s[12:13], 4
	s_delay_alu instid0(VALU_DEP_2) | instskip(SKIP_1) | instid1(VALU_DEP_2)
	v_lshl_add_u64 v[14:15], v[14:15], 4, s[0:1]
	s_sub_nc_u64 s[4:5], 0, s[4:5]
	v_add_nc_u64_e32 v[12:13], 8, v[6:7]
	s_branch .LBB29_4
.LBB29_3:                               ;   in Loop: Header=BB29_4 Depth=1
	s_or_b32 exec_lo, exec_lo, s6
	s_delay_alu instid0(VALU_DEP_2) | instskip(NEXT) | instid1(VALU_DEP_2)
	v_add_f64_e64 v[0:1], v[0:1], -v[4:5]
	v_add_f64_e64 v[2:3], v[2:3], -v[6:7]
	s_add_nc_u64 s[6:7], s[2:3], 1
	v_add_nc_u64_e32 v[12:13], s[4:5], v[12:13]
	v_cmp_lt_u64_e64 s6, s[6:7], 3
	s_add_nc_u64 s[2:3], s[2:3], -1
	s_and_b32 vcc_lo, exec_lo, s6
	s_cbranch_vccnz .LBB29_12
.LBB29_4:                               ; =>This Inner Loop Header: Depth=1
	s_mov_b32 s6, exec_lo
	s_wait_loadcnt_dscnt 0x0
	s_barrier_signal -1
	s_barrier_wait -1
	v_cmpx_eq_u64_e64 s[2:3], v[10:11]
	s_cbranch_execz .LBB29_10
; %bb.5:                                ;   in Loop: Header=BB29_4 Depth=1
	flat_load_b128 v[4:7], v[14:15]
	s_wait_loadcnt_dscnt 0x0
	v_cmp_ngt_f64_e64 s7, |v[4:5]|, |v[6:7]|
	s_and_saveexec_b32 s8, s7
	s_delay_alu instid0(SALU_CYCLE_1)
	s_xor_b32 s7, exec_lo, s8
	s_cbranch_execz .LBB29_7
; %bb.6:                                ;   in Loop: Header=BB29_4 Depth=1
	v_div_scale_f64 v[18:19], null, -v[6:7], -v[6:7], v[4:5]
	v_div_scale_f64 v[24:25], vcc_lo, v[4:5], -v[6:7], v[4:5]
	s_delay_alu instid0(VALU_DEP_2) | instskip(SKIP_1) | instid1(TRANS32_DEP_1)
	v_rcp_f64_e32 v[20:21], v[18:19]
	v_nop
	v_fma_f64 v[22:23], -v[18:19], v[20:21], 1.0
	s_delay_alu instid0(VALU_DEP_1) | instskip(NEXT) | instid1(VALU_DEP_1)
	v_fmac_f64_e32 v[20:21], v[20:21], v[22:23]
	v_fma_f64 v[22:23], -v[18:19], v[20:21], 1.0
	s_delay_alu instid0(VALU_DEP_1) | instskip(NEXT) | instid1(VALU_DEP_1)
	v_fmac_f64_e32 v[20:21], v[20:21], v[22:23]
	v_mul_f64_e32 v[22:23], v[24:25], v[20:21]
	s_delay_alu instid0(VALU_DEP_1) | instskip(NEXT) | instid1(VALU_DEP_1)
	v_fma_f64 v[18:19], -v[18:19], v[22:23], v[24:25]
	v_div_fmas_f64 v[18:19], v[18:19], v[20:21], v[22:23]
	s_delay_alu instid0(VALU_DEP_1) | instskip(NEXT) | instid1(VALU_DEP_1)
	v_div_fixup_f64 v[18:19], v[18:19], -v[6:7], v[4:5]
	v_fma_f64 v[4:5], v[4:5], v[18:19], -v[6:7]
	s_delay_alu instid0(VALU_DEP_1) | instskip(SKIP_1) | instid1(VALU_DEP_2)
	v_div_scale_f64 v[6:7], null, v[4:5], v[4:5], 1.0
	v_div_scale_f64 v[24:25], vcc_lo, 1.0, v[4:5], 1.0
	v_rcp_f64_e32 v[20:21], v[6:7]
	v_nop
	s_delay_alu instid0(TRANS32_DEP_1) | instskip(NEXT) | instid1(VALU_DEP_1)
	v_fma_f64 v[22:23], -v[6:7], v[20:21], 1.0
	v_fmac_f64_e32 v[20:21], v[20:21], v[22:23]
	s_delay_alu instid0(VALU_DEP_1) | instskip(NEXT) | instid1(VALU_DEP_1)
	v_fma_f64 v[22:23], -v[6:7], v[20:21], 1.0
	v_fmac_f64_e32 v[20:21], v[20:21], v[22:23]
	s_delay_alu instid0(VALU_DEP_1) | instskip(NEXT) | instid1(VALU_DEP_1)
	v_mul_f64_e32 v[22:23], v[24:25], v[20:21]
	v_fma_f64 v[6:7], -v[6:7], v[22:23], v[24:25]
	s_delay_alu instid0(VALU_DEP_1) | instskip(NEXT) | instid1(VALU_DEP_1)
	v_div_fmas_f64 v[6:7], v[6:7], v[20:21], v[22:23]
	v_div_fixup_f64 v[4:5], v[6:7], v[4:5], 1.0
	v_fma_f64 v[6:7], v[0:1], v[18:19], v[2:3]
	v_fma_f64 v[0:1], v[2:3], v[18:19], -v[0:1]
	s_delay_alu instid0(VALU_DEP_2) | instskip(NEXT) | instid1(VALU_DEP_2)
	v_mul_f64_e32 v[6:7], v[6:7], v[4:5]
	v_mul_f64_e32 v[2:3], v[0:1], v[4:5]
	s_delay_alu instid0(VALU_DEP_2)
	v_mov_b64_e32 v[0:1], v[6:7]
                                        ; implicit-def: $vgpr4_vgpr5
.LBB29_7:                               ;   in Loop: Header=BB29_4 Depth=1
	s_and_not1_saveexec_b32 s7, s7
	s_cbranch_execz .LBB29_9
; %bb.8:                                ;   in Loop: Header=BB29_4 Depth=1
	v_div_scale_f64 v[18:19], null, v[4:5], v[4:5], -v[6:7]
	v_div_scale_f64 v[24:25], vcc_lo, -v[6:7], v[4:5], -v[6:7]
	s_delay_alu instid0(VALU_DEP_2) | instskip(SKIP_1) | instid1(TRANS32_DEP_1)
	v_rcp_f64_e32 v[20:21], v[18:19]
	v_nop
	v_fma_f64 v[22:23], -v[18:19], v[20:21], 1.0
	s_delay_alu instid0(VALU_DEP_1) | instskip(NEXT) | instid1(VALU_DEP_1)
	v_fmac_f64_e32 v[20:21], v[20:21], v[22:23]
	v_fma_f64 v[22:23], -v[18:19], v[20:21], 1.0
	s_delay_alu instid0(VALU_DEP_1) | instskip(NEXT) | instid1(VALU_DEP_1)
	v_fmac_f64_e32 v[20:21], v[20:21], v[22:23]
	v_mul_f64_e32 v[22:23], v[24:25], v[20:21]
	s_delay_alu instid0(VALU_DEP_1) | instskip(NEXT) | instid1(VALU_DEP_1)
	v_fma_f64 v[18:19], -v[18:19], v[22:23], v[24:25]
	v_div_fmas_f64 v[18:19], v[18:19], v[20:21], v[22:23]
	s_delay_alu instid0(VALU_DEP_1) | instskip(NEXT) | instid1(VALU_DEP_1)
	v_div_fixup_f64 v[18:19], v[18:19], v[4:5], -v[6:7]
	v_fma_f64 v[4:5], -v[6:7], v[18:19], v[4:5]
	s_delay_alu instid0(VALU_DEP_1) | instskip(SKIP_1) | instid1(VALU_DEP_2)
	v_div_scale_f64 v[6:7], null, v[4:5], v[4:5], 1.0
	v_div_scale_f64 v[24:25], vcc_lo, 1.0, v[4:5], 1.0
	v_rcp_f64_e32 v[20:21], v[6:7]
	v_nop
	s_delay_alu instid0(TRANS32_DEP_1) | instskip(NEXT) | instid1(VALU_DEP_1)
	v_fma_f64 v[22:23], -v[6:7], v[20:21], 1.0
	v_fmac_f64_e32 v[20:21], v[20:21], v[22:23]
	s_delay_alu instid0(VALU_DEP_1) | instskip(NEXT) | instid1(VALU_DEP_1)
	v_fma_f64 v[22:23], -v[6:7], v[20:21], 1.0
	v_fmac_f64_e32 v[20:21], v[20:21], v[22:23]
	s_delay_alu instid0(VALU_DEP_1) | instskip(NEXT) | instid1(VALU_DEP_1)
	v_mul_f64_e32 v[22:23], v[24:25], v[20:21]
	v_fma_f64 v[6:7], -v[6:7], v[22:23], v[24:25]
	s_delay_alu instid0(VALU_DEP_1) | instskip(NEXT) | instid1(VALU_DEP_1)
	v_div_fmas_f64 v[6:7], v[6:7], v[20:21], v[22:23]
	v_div_fixup_f64 v[4:5], v[6:7], v[4:5], 1.0
	v_fma_f64 v[6:7], v[2:3], v[18:19], v[0:1]
	v_fma_f64 v[0:1], -v[0:1], v[18:19], v[2:3]
	s_delay_alu instid0(VALU_DEP_2) | instskip(NEXT) | instid1(VALU_DEP_2)
	v_mul_f64_e32 v[6:7], v[6:7], v[4:5]
	v_mul_f64_e32 v[2:3], v[0:1], v[4:5]
	s_delay_alu instid0(VALU_DEP_2)
	v_mov_b64_e32 v[0:1], v[6:7]
.LBB29_9:                               ;   in Loop: Header=BB29_4 Depth=1
	s_or_b32 exec_lo, exec_lo, s7
	ds_store_2addr_b64 v16, v[0:1], v[2:3] offset1:1
.LBB29_10:                              ;   in Loop: Header=BB29_4 Depth=1
	s_or_b32 exec_lo, exec_lo, s6
	v_mov_b64_e32 v[4:5], 0
	v_mov_b64_e32 v[6:7], 0
	s_mov_b32 s6, exec_lo
	s_wait_dscnt 0x0
	s_barrier_signal -1
	s_barrier_wait -1
	v_cmpx_gt_i64_e64 s[2:3], v[10:11]
	s_cbranch_execz .LBB29_3
; %bb.11:                               ;   in Loop: Header=BB29_4 Depth=1
	flat_load_b128 v[18:21], v[12:13] offset:-8
	ds_load_2addr_b64 v[22:25], v16 offset1:1
	s_wait_loadcnt_dscnt 0x0
	v_mul_f64_e32 v[4:5], v[20:21], v[24:25]
	v_mul_f64_e32 v[6:7], v[20:21], v[22:23]
	s_delay_alu instid0(VALU_DEP_2) | instskip(NEXT) | instid1(VALU_DEP_2)
	v_fmac_f64_e32 v[4:5], v[18:19], v[22:23]
	v_fma_f64 v[6:7], v[18:19], v[24:25], -v[6:7]
	s_branch .LBB29_3
.LBB29_12:
	s_mov_b32 s2, exec_lo
	v_cmpx_eq_u32_e32 0, v10
	s_cbranch_execz .LBB29_18
; %bb.13:
	v_mov_b32_e32 v4, 0
	flat_load_b128 v[4:7], v4, s[0:1]
	s_wait_loadcnt_dscnt 0x0
	v_cmp_ngt_f64_e64 s0, |v[4:5]|, |v[6:7]|
	s_and_saveexec_b32 s1, s0
	s_delay_alu instid0(SALU_CYCLE_1)
	s_xor_b32 s0, exec_lo, s1
	s_cbranch_execz .LBB29_15
; %bb.14:
	v_div_scale_f64 v[10:11], null, -v[6:7], -v[6:7], v[4:5]
	v_div_scale_f64 v[16:17], vcc_lo, v[4:5], -v[6:7], v[4:5]
	s_delay_alu instid0(VALU_DEP_2) | instskip(SKIP_1) | instid1(TRANS32_DEP_1)
	v_rcp_f64_e32 v[12:13], v[10:11]
	v_nop
	v_fma_f64 v[14:15], -v[10:11], v[12:13], 1.0
	s_delay_alu instid0(VALU_DEP_1) | instskip(NEXT) | instid1(VALU_DEP_1)
	v_fmac_f64_e32 v[12:13], v[12:13], v[14:15]
	v_fma_f64 v[14:15], -v[10:11], v[12:13], 1.0
	s_delay_alu instid0(VALU_DEP_1) | instskip(NEXT) | instid1(VALU_DEP_1)
	v_fmac_f64_e32 v[12:13], v[12:13], v[14:15]
	v_mul_f64_e32 v[14:15], v[16:17], v[12:13]
	s_delay_alu instid0(VALU_DEP_1) | instskip(NEXT) | instid1(VALU_DEP_1)
	v_fma_f64 v[10:11], -v[10:11], v[14:15], v[16:17]
	v_div_fmas_f64 v[10:11], v[10:11], v[12:13], v[14:15]
	s_delay_alu instid0(VALU_DEP_1) | instskip(NEXT) | instid1(VALU_DEP_1)
	v_div_fixup_f64 v[10:11], v[10:11], -v[6:7], v[4:5]
	v_fma_f64 v[4:5], v[4:5], v[10:11], -v[6:7]
	s_delay_alu instid0(VALU_DEP_1) | instskip(SKIP_1) | instid1(VALU_DEP_2)
	v_div_scale_f64 v[6:7], null, v[4:5], v[4:5], 1.0
	v_div_scale_f64 v[16:17], vcc_lo, 1.0, v[4:5], 1.0
	v_rcp_f64_e32 v[12:13], v[6:7]
	v_nop
	s_delay_alu instid0(TRANS32_DEP_1) | instskip(NEXT) | instid1(VALU_DEP_1)
	v_fma_f64 v[14:15], -v[6:7], v[12:13], 1.0
	v_fmac_f64_e32 v[12:13], v[12:13], v[14:15]
	s_delay_alu instid0(VALU_DEP_1) | instskip(NEXT) | instid1(VALU_DEP_1)
	v_fma_f64 v[14:15], -v[6:7], v[12:13], 1.0
	v_fmac_f64_e32 v[12:13], v[12:13], v[14:15]
	s_delay_alu instid0(VALU_DEP_1) | instskip(NEXT) | instid1(VALU_DEP_1)
	v_mul_f64_e32 v[14:15], v[16:17], v[12:13]
	v_fma_f64 v[6:7], -v[6:7], v[14:15], v[16:17]
	s_delay_alu instid0(VALU_DEP_1) | instskip(NEXT) | instid1(VALU_DEP_1)
	v_div_fmas_f64 v[6:7], v[6:7], v[12:13], v[14:15]
	v_div_fixup_f64 v[4:5], v[6:7], v[4:5], 1.0
	v_fma_f64 v[6:7], v[0:1], v[10:11], v[2:3]
	v_fma_f64 v[0:1], v[2:3], v[10:11], -v[0:1]
	s_delay_alu instid0(VALU_DEP_2) | instskip(NEXT) | instid1(VALU_DEP_2)
	v_mul_f64_e32 v[6:7], v[6:7], v[4:5]
	v_mul_f64_e32 v[2:3], v[0:1], v[4:5]
	s_delay_alu instid0(VALU_DEP_2)
	v_mov_b64_e32 v[0:1], v[6:7]
                                        ; implicit-def: $vgpr4_vgpr5
.LBB29_15:
	s_and_not1_saveexec_b32 s0, s0
	s_cbranch_execz .LBB29_17
; %bb.16:
	v_div_scale_f64 v[10:11], null, v[4:5], v[4:5], -v[6:7]
	v_div_scale_f64 v[16:17], vcc_lo, -v[6:7], v[4:5], -v[6:7]
	s_delay_alu instid0(VALU_DEP_2) | instskip(SKIP_1) | instid1(TRANS32_DEP_1)
	v_rcp_f64_e32 v[12:13], v[10:11]
	v_nop
	v_fma_f64 v[14:15], -v[10:11], v[12:13], 1.0
	s_delay_alu instid0(VALU_DEP_1) | instskip(NEXT) | instid1(VALU_DEP_1)
	v_fmac_f64_e32 v[12:13], v[12:13], v[14:15]
	v_fma_f64 v[14:15], -v[10:11], v[12:13], 1.0
	s_delay_alu instid0(VALU_DEP_1) | instskip(NEXT) | instid1(VALU_DEP_1)
	v_fmac_f64_e32 v[12:13], v[12:13], v[14:15]
	v_mul_f64_e32 v[14:15], v[16:17], v[12:13]
	s_delay_alu instid0(VALU_DEP_1) | instskip(NEXT) | instid1(VALU_DEP_1)
	v_fma_f64 v[10:11], -v[10:11], v[14:15], v[16:17]
	v_div_fmas_f64 v[10:11], v[10:11], v[12:13], v[14:15]
	s_delay_alu instid0(VALU_DEP_1) | instskip(NEXT) | instid1(VALU_DEP_1)
	v_div_fixup_f64 v[10:11], v[10:11], v[4:5], -v[6:7]
	v_fma_f64 v[4:5], -v[6:7], v[10:11], v[4:5]
	s_delay_alu instid0(VALU_DEP_1) | instskip(SKIP_1) | instid1(VALU_DEP_2)
	v_div_scale_f64 v[6:7], null, v[4:5], v[4:5], 1.0
	v_div_scale_f64 v[16:17], vcc_lo, 1.0, v[4:5], 1.0
	v_rcp_f64_e32 v[12:13], v[6:7]
	v_nop
	s_delay_alu instid0(TRANS32_DEP_1) | instskip(NEXT) | instid1(VALU_DEP_1)
	v_fma_f64 v[14:15], -v[6:7], v[12:13], 1.0
	v_fmac_f64_e32 v[12:13], v[12:13], v[14:15]
	s_delay_alu instid0(VALU_DEP_1) | instskip(NEXT) | instid1(VALU_DEP_1)
	v_fma_f64 v[14:15], -v[6:7], v[12:13], 1.0
	v_fmac_f64_e32 v[12:13], v[12:13], v[14:15]
	s_delay_alu instid0(VALU_DEP_1) | instskip(NEXT) | instid1(VALU_DEP_1)
	v_mul_f64_e32 v[14:15], v[16:17], v[12:13]
	v_fma_f64 v[6:7], -v[6:7], v[14:15], v[16:17]
	s_delay_alu instid0(VALU_DEP_1) | instskip(NEXT) | instid1(VALU_DEP_1)
	v_div_fmas_f64 v[6:7], v[6:7], v[12:13], v[14:15]
	v_div_fixup_f64 v[4:5], v[6:7], v[4:5], 1.0
	v_fma_f64 v[6:7], v[2:3], v[10:11], v[0:1]
	v_fma_f64 v[0:1], -v[0:1], v[10:11], v[2:3]
	s_delay_alu instid0(VALU_DEP_2) | instskip(NEXT) | instid1(VALU_DEP_2)
	v_mul_f64_e32 v[6:7], v[6:7], v[4:5]
	v_mul_f64_e32 v[2:3], v[0:1], v[4:5]
	s_delay_alu instid0(VALU_DEP_2)
	v_mov_b64_e32 v[0:1], v[6:7]
.LBB29_17:
	s_or_b32 exec_lo, exec_lo, s0
.LBB29_18:
	s_delay_alu instid0(SALU_CYCLE_1)
	s_or_b32 exec_lo, exec_lo, s2
	s_wait_loadcnt_dscnt 0x0
	flat_store_b128 v[8:9], v[0:3]
.LBB29_19:
	s_endpgm
	.section	.rodata,"a",@progbits
	.p2align	6, 0x0
	.amdhsa_kernel _ZN9rocsolver6v33100L41conj_nonunit_backward_substitution_kernelI19rocblas_complex_numIdElPKPS3_EEvT0_S7_T1_S7_S7_llS8_S7_S7_ll
		.amdhsa_group_segment_fixed_size 0
		.amdhsa_private_segment_fixed_size 0
		.amdhsa_kernarg_size 352
		.amdhsa_user_sgpr_count 2
		.amdhsa_user_sgpr_dispatch_ptr 0
		.amdhsa_user_sgpr_queue_ptr 0
		.amdhsa_user_sgpr_kernarg_segment_ptr 1
		.amdhsa_user_sgpr_dispatch_id 0
		.amdhsa_user_sgpr_kernarg_preload_length 0
		.amdhsa_user_sgpr_kernarg_preload_offset 0
		.amdhsa_user_sgpr_private_segment_size 0
		.amdhsa_wavefront_size32 1
		.amdhsa_uses_dynamic_stack 0
		.amdhsa_enable_private_segment 0
		.amdhsa_system_sgpr_workgroup_id_x 1
		.amdhsa_system_sgpr_workgroup_id_y 1
		.amdhsa_system_sgpr_workgroup_id_z 1
		.amdhsa_system_sgpr_workgroup_info 0
		.amdhsa_system_vgpr_workitem_id 1
		.amdhsa_next_free_vgpr 26
		.amdhsa_next_free_sgpr 20
		.amdhsa_named_barrier_count 0
		.amdhsa_reserve_vcc 1
		.amdhsa_float_round_mode_32 0
		.amdhsa_float_round_mode_16_64 0
		.amdhsa_float_denorm_mode_32 3
		.amdhsa_float_denorm_mode_16_64 3
		.amdhsa_fp16_overflow 0
		.amdhsa_memory_ordered 1
		.amdhsa_forward_progress 1
		.amdhsa_inst_pref_size 13
		.amdhsa_round_robin_scheduling 0
		.amdhsa_exception_fp_ieee_invalid_op 0
		.amdhsa_exception_fp_denorm_src 0
		.amdhsa_exception_fp_ieee_div_zero 0
		.amdhsa_exception_fp_ieee_overflow 0
		.amdhsa_exception_fp_ieee_underflow 0
		.amdhsa_exception_fp_ieee_inexact 0
		.amdhsa_exception_int_div_zero 0
	.end_amdhsa_kernel
	.section	.text._ZN9rocsolver6v33100L41conj_nonunit_backward_substitution_kernelI19rocblas_complex_numIdElPKPS3_EEvT0_S7_T1_S7_S7_llS8_S7_S7_ll,"axG",@progbits,_ZN9rocsolver6v33100L41conj_nonunit_backward_substitution_kernelI19rocblas_complex_numIdElPKPS3_EEvT0_S7_T1_S7_S7_llS8_S7_S7_ll,comdat
.Lfunc_end29:
	.size	_ZN9rocsolver6v33100L41conj_nonunit_backward_substitution_kernelI19rocblas_complex_numIdElPKPS3_EEvT0_S7_T1_S7_S7_llS8_S7_S7_ll, .Lfunc_end29-_ZN9rocsolver6v33100L41conj_nonunit_backward_substitution_kernelI19rocblas_complex_numIdElPKPS3_EEvT0_S7_T1_S7_S7_llS8_S7_S7_ll
                                        ; -- End function
	.set _ZN9rocsolver6v33100L41conj_nonunit_backward_substitution_kernelI19rocblas_complex_numIdElPKPS3_EEvT0_S7_T1_S7_S7_llS8_S7_S7_ll.num_vgpr, 26
	.set _ZN9rocsolver6v33100L41conj_nonunit_backward_substitution_kernelI19rocblas_complex_numIdElPKPS3_EEvT0_S7_T1_S7_S7_llS8_S7_S7_ll.num_agpr, 0
	.set _ZN9rocsolver6v33100L41conj_nonunit_backward_substitution_kernelI19rocblas_complex_numIdElPKPS3_EEvT0_S7_T1_S7_S7_llS8_S7_S7_ll.numbered_sgpr, 20
	.set _ZN9rocsolver6v33100L41conj_nonunit_backward_substitution_kernelI19rocblas_complex_numIdElPKPS3_EEvT0_S7_T1_S7_S7_llS8_S7_S7_ll.num_named_barrier, 0
	.set _ZN9rocsolver6v33100L41conj_nonunit_backward_substitution_kernelI19rocblas_complex_numIdElPKPS3_EEvT0_S7_T1_S7_S7_llS8_S7_S7_ll.private_seg_size, 0
	.set _ZN9rocsolver6v33100L41conj_nonunit_backward_substitution_kernelI19rocblas_complex_numIdElPKPS3_EEvT0_S7_T1_S7_S7_llS8_S7_S7_ll.uses_vcc, 1
	.set _ZN9rocsolver6v33100L41conj_nonunit_backward_substitution_kernelI19rocblas_complex_numIdElPKPS3_EEvT0_S7_T1_S7_S7_llS8_S7_S7_ll.uses_flat_scratch, 0
	.set _ZN9rocsolver6v33100L41conj_nonunit_backward_substitution_kernelI19rocblas_complex_numIdElPKPS3_EEvT0_S7_T1_S7_S7_llS8_S7_S7_ll.has_dyn_sized_stack, 0
	.set _ZN9rocsolver6v33100L41conj_nonunit_backward_substitution_kernelI19rocblas_complex_numIdElPKPS3_EEvT0_S7_T1_S7_S7_llS8_S7_S7_ll.has_recursion, 0
	.set _ZN9rocsolver6v33100L41conj_nonunit_backward_substitution_kernelI19rocblas_complex_numIdElPKPS3_EEvT0_S7_T1_S7_S7_llS8_S7_S7_ll.has_indirect_call, 0
	.section	.AMDGPU.csdata,"",@progbits
; Kernel info:
; codeLenInByte = 1644
; TotalNumSgprs: 22
; NumVgprs: 26
; ScratchSize: 0
; MemoryBound: 0
; FloatMode: 240
; IeeeMode: 1
; LDSByteSize: 0 bytes/workgroup (compile time only)
; SGPRBlocks: 0
; VGPRBlocks: 1
; NumSGPRsForWavesPerEU: 22
; NumVGPRsForWavesPerEU: 26
; NamedBarCnt: 0
; Occupancy: 16
; WaveLimiterHint : 1
; COMPUTE_PGM_RSRC2:SCRATCH_EN: 0
; COMPUTE_PGM_RSRC2:USER_SGPR: 2
; COMPUTE_PGM_RSRC2:TRAP_HANDLER: 0
; COMPUTE_PGM_RSRC2:TGID_X_EN: 1
; COMPUTE_PGM_RSRC2:TGID_Y_EN: 1
; COMPUTE_PGM_RSRC2:TGID_Z_EN: 1
; COMPUTE_PGM_RSRC2:TIDIG_COMP_CNT: 1
	.section	.text._ZN9rocsolver6v33100L33unit_backward_substitution_kernelI19rocblas_complex_numIdElPKPS3_EEvT0_S7_T1_S7_S7_llS8_S7_S7_ll,"axG",@progbits,_ZN9rocsolver6v33100L33unit_backward_substitution_kernelI19rocblas_complex_numIdElPKPS3_EEvT0_S7_T1_S7_S7_llS8_S7_S7_ll,comdat
	.globl	_ZN9rocsolver6v33100L33unit_backward_substitution_kernelI19rocblas_complex_numIdElPKPS3_EEvT0_S7_T1_S7_S7_llS8_S7_S7_ll ; -- Begin function _ZN9rocsolver6v33100L33unit_backward_substitution_kernelI19rocblas_complex_numIdElPKPS3_EEvT0_S7_T1_S7_S7_llS8_S7_S7_ll
	.p2align	8
	.type	_ZN9rocsolver6v33100L33unit_backward_substitution_kernelI19rocblas_complex_numIdElPKPS3_EEvT0_S7_T1_S7_S7_llS8_S7_S7_ll,@function
_ZN9rocsolver6v33100L33unit_backward_substitution_kernelI19rocblas_complex_numIdElPKPS3_EEvT0_S7_T1_S7_S7_llS8_S7_S7_ll: ; @_ZN9rocsolver6v33100L33unit_backward_substitution_kernelI19rocblas_complex_numIdElPKPS3_EEvT0_S7_T1_S7_S7_llS8_S7_S7_ll
; %bb.0:
	s_clause 0x1
	s_load_u16 s3, s[0:1], 0x6e
	s_load_b256 s[4:11], s[0:1], 0x0
	s_bfe_u32 s2, ttmp6, 0x40010
	v_mov_b32_e32 v5, 0
	s_and_b32 s12, ttmp7, 0xffff
	s_add_co_i32 s2, s2, 1
	s_bfe_u32 s14, ttmp6, 0x40004
	s_mul_i32 s13, s12, s2
	s_getreg_b32 s2, hwreg(HW_REG_IB_STS2, 6, 4)
	v_bfe_u32 v8, v0, 10, 10
	v_mov_b32_e32 v9, v5
	s_add_co_i32 s14, s14, s13
	s_cmp_eq_u32 s2, 0
	s_cselect_b32 s12, s12, s14
	s_wait_kmcnt 0x0
	v_mad_nc_u64_u32 v[2:3], s3, s12, v[8:9]
	s_mov_b32 s3, exec_lo
	s_delay_alu instid0(VALU_DEP_1)
	v_cmpx_gt_i64_e64 s[6:7], v[2:3]
	s_cbranch_execz .LBB30_9
; %bb.1:
	s_load_b256 s[12:19], s[0:1], 0x38
	v_and_b32_e32 v4, 0x3ff, v0
	s_bfe_u32 s3, ttmp6, 0x40014
	s_lshr_b32 s6, ttmp7, 16
	s_add_co_i32 s3, s3, 1
	s_bfe_u32 s7, ttmp6, 0x40008
	s_mul_i32 s3, s6, s3
	s_delay_alu instid0(SALU_CYCLE_1)
	s_add_co_i32 s7, s7, s3
	s_cmp_eq_u32 s2, 0
	s_cselect_b32 s6, s6, s7
	v_cmp_lt_i64_e64 s7, s[4:5], 2
	s_and_b32 vcc_lo, exec_lo, s7
	s_wait_kmcnt 0x0
	v_mul_u64_e32 v[0:1], s[14:15], v[4:5]
	v_mul_u64_e32 v[2:3], s[16:17], v[2:3]
	s_load_b64 s[2:3], s[12:13], s6 offset:0x0 scale_offset
	s_wait_xcnt 0x0
	s_lshl_b64 s[12:13], s[18:19], 4
	s_wait_kmcnt 0x0
	s_add_nc_u64 s[2:3], s[2:3], s[12:13]
	s_delay_alu instid0(VALU_DEP_2) | instid1(SALU_CYCLE_1)
	v_lshl_add_u64 v[0:1], v[0:1], 4, s[2:3]
	s_load_b128 s[0:3], s[0:1], 0x20
	s_delay_alu instid0(VALU_DEP_1)
	v_lshl_add_u64 v[6:7], v[2:3], 4, v[0:1]
	flat_load_b128 v[0:3], v[6:7]
	s_cbranch_vccnz .LBB30_8
; %bb.2:
	v_mul_u64_e32 v[10:11], s[10:11], v[4:5]
	s_load_b64 s[6:7], s[8:9], s6 offset:0x0 scale_offset
	s_add_nc_u64 s[4:5], s[4:5], -1
	s_wait_kmcnt 0x0
	s_lshl_b64 s[2:3], s[2:3], 4
	s_mul_u64 s[8:9], s[0:1], s[4:5]
	v_lshl_add_u32 v14, v8, 4, 0
	s_lshl_b64 s[8:9], s[8:9], 4
	s_lshl_b64 s[0:1], s[0:1], 4
	s_delay_alu instid0(SALU_CYCLE_1) | instskip(SKIP_1) | instid1(SALU_CYCLE_1)
	s_sub_nc_u64 s[0:1], 0, s[0:1]
	s_add_nc_u64 s[2:3], s[6:7], s[2:3]
	s_add_nc_u64 s[2:3], s[2:3], s[8:9]
	s_delay_alu instid0(VALU_DEP_2) | instid1(SALU_CYCLE_1)
	v_lshl_add_u64 v[10:11], v[10:11], 4, s[2:3]
	s_delay_alu instid0(VALU_DEP_1)
	v_add_nc_u64_e32 v[10:11], 8, v[10:11]
	s_branch .LBB30_4
.LBB30_3:                               ;   in Loop: Header=BB30_4 Depth=1
	s_or_b32 exec_lo, exec_lo, s2
	s_delay_alu instid0(VALU_DEP_2) | instskip(NEXT) | instid1(VALU_DEP_2)
	v_add_f64_e64 v[0:1], v[0:1], -v[12:13]
	v_add_f64_e64 v[2:3], v[2:3], -v[8:9]
	s_add_nc_u64 s[2:3], s[4:5], 1
	v_add_nc_u64_e32 v[10:11], s[0:1], v[10:11]
	v_cmp_lt_u64_e64 s2, s[2:3], 3
	s_add_nc_u64 s[4:5], s[4:5], -1
	s_and_b32 vcc_lo, exec_lo, s2
	s_cbranch_vccnz .LBB30_8
.LBB30_4:                               ; =>This Inner Loop Header: Depth=1
	s_mov_b32 s2, exec_lo
	s_wait_loadcnt_dscnt 0x0
	s_barrier_signal -1
	s_barrier_wait -1
	v_cmpx_eq_u64_e64 s[4:5], v[4:5]
; %bb.5:                                ;   in Loop: Header=BB30_4 Depth=1
	ds_store_2addr_b64 v14, v[0:1], v[2:3] offset1:1
; %bb.6:                                ;   in Loop: Header=BB30_4 Depth=1
	s_or_b32 exec_lo, exec_lo, s2
	v_mov_b64_e32 v[8:9], 0
	v_mov_b64_e32 v[12:13], 0
	s_mov_b32 s2, exec_lo
	s_wait_dscnt 0x0
	s_barrier_signal -1
	s_barrier_wait -1
	v_cmpx_gt_i64_e64 s[4:5], v[4:5]
	s_cbranch_execz .LBB30_3
; %bb.7:                                ;   in Loop: Header=BB30_4 Depth=1
	flat_load_b128 v[16:19], v[10:11] offset:-8
	ds_load_2addr_b64 v[20:23], v14 offset1:1
	s_wait_loadcnt_dscnt 0x0
	v_mul_f64_e32 v[12:13], v[22:23], v[18:19]
	v_mul_f64_e32 v[8:9], v[20:21], v[18:19]
	s_delay_alu instid0(VALU_DEP_2) | instskip(NEXT) | instid1(VALU_DEP_2)
	v_fma_f64 v[12:13], v[20:21], v[16:17], -v[12:13]
	v_fmac_f64_e32 v[8:9], v[22:23], v[16:17]
	s_branch .LBB30_3
.LBB30_8:
	s_wait_loadcnt_dscnt 0x0
	flat_store_b128 v[6:7], v[0:3]
.LBB30_9:
	s_endpgm
	.section	.rodata,"a",@progbits
	.p2align	6, 0x0
	.amdhsa_kernel _ZN9rocsolver6v33100L33unit_backward_substitution_kernelI19rocblas_complex_numIdElPKPS3_EEvT0_S7_T1_S7_S7_llS8_S7_S7_ll
		.amdhsa_group_segment_fixed_size 0
		.amdhsa_private_segment_fixed_size 0
		.amdhsa_kernarg_size 352
		.amdhsa_user_sgpr_count 2
		.amdhsa_user_sgpr_dispatch_ptr 0
		.amdhsa_user_sgpr_queue_ptr 0
		.amdhsa_user_sgpr_kernarg_segment_ptr 1
		.amdhsa_user_sgpr_dispatch_id 0
		.amdhsa_user_sgpr_kernarg_preload_length 0
		.amdhsa_user_sgpr_kernarg_preload_offset 0
		.amdhsa_user_sgpr_private_segment_size 0
		.amdhsa_wavefront_size32 1
		.amdhsa_uses_dynamic_stack 0
		.amdhsa_enable_private_segment 0
		.amdhsa_system_sgpr_workgroup_id_x 1
		.amdhsa_system_sgpr_workgroup_id_y 1
		.amdhsa_system_sgpr_workgroup_id_z 1
		.amdhsa_system_sgpr_workgroup_info 0
		.amdhsa_system_vgpr_workitem_id 1
		.amdhsa_next_free_vgpr 24
		.amdhsa_next_free_sgpr 20
		.amdhsa_named_barrier_count 0
		.amdhsa_reserve_vcc 1
		.amdhsa_float_round_mode_32 0
		.amdhsa_float_round_mode_16_64 0
		.amdhsa_float_denorm_mode_32 3
		.amdhsa_float_denorm_mode_16_64 3
		.amdhsa_fp16_overflow 0
		.amdhsa_memory_ordered 1
		.amdhsa_forward_progress 1
		.amdhsa_inst_pref_size 5
		.amdhsa_round_robin_scheduling 0
		.amdhsa_exception_fp_ieee_invalid_op 0
		.amdhsa_exception_fp_denorm_src 0
		.amdhsa_exception_fp_ieee_div_zero 0
		.amdhsa_exception_fp_ieee_overflow 0
		.amdhsa_exception_fp_ieee_underflow 0
		.amdhsa_exception_fp_ieee_inexact 0
		.amdhsa_exception_int_div_zero 0
	.end_amdhsa_kernel
	.section	.text._ZN9rocsolver6v33100L33unit_backward_substitution_kernelI19rocblas_complex_numIdElPKPS3_EEvT0_S7_T1_S7_S7_llS8_S7_S7_ll,"axG",@progbits,_ZN9rocsolver6v33100L33unit_backward_substitution_kernelI19rocblas_complex_numIdElPKPS3_EEvT0_S7_T1_S7_S7_llS8_S7_S7_ll,comdat
.Lfunc_end30:
	.size	_ZN9rocsolver6v33100L33unit_backward_substitution_kernelI19rocblas_complex_numIdElPKPS3_EEvT0_S7_T1_S7_S7_llS8_S7_S7_ll, .Lfunc_end30-_ZN9rocsolver6v33100L33unit_backward_substitution_kernelI19rocblas_complex_numIdElPKPS3_EEvT0_S7_T1_S7_S7_llS8_S7_S7_ll
                                        ; -- End function
	.set _ZN9rocsolver6v33100L33unit_backward_substitution_kernelI19rocblas_complex_numIdElPKPS3_EEvT0_S7_T1_S7_S7_llS8_S7_S7_ll.num_vgpr, 24
	.set _ZN9rocsolver6v33100L33unit_backward_substitution_kernelI19rocblas_complex_numIdElPKPS3_EEvT0_S7_T1_S7_S7_llS8_S7_S7_ll.num_agpr, 0
	.set _ZN9rocsolver6v33100L33unit_backward_substitution_kernelI19rocblas_complex_numIdElPKPS3_EEvT0_S7_T1_S7_S7_llS8_S7_S7_ll.numbered_sgpr, 20
	.set _ZN9rocsolver6v33100L33unit_backward_substitution_kernelI19rocblas_complex_numIdElPKPS3_EEvT0_S7_T1_S7_S7_llS8_S7_S7_ll.num_named_barrier, 0
	.set _ZN9rocsolver6v33100L33unit_backward_substitution_kernelI19rocblas_complex_numIdElPKPS3_EEvT0_S7_T1_S7_S7_llS8_S7_S7_ll.private_seg_size, 0
	.set _ZN9rocsolver6v33100L33unit_backward_substitution_kernelI19rocblas_complex_numIdElPKPS3_EEvT0_S7_T1_S7_S7_llS8_S7_S7_ll.uses_vcc, 1
	.set _ZN9rocsolver6v33100L33unit_backward_substitution_kernelI19rocblas_complex_numIdElPKPS3_EEvT0_S7_T1_S7_S7_llS8_S7_S7_ll.uses_flat_scratch, 0
	.set _ZN9rocsolver6v33100L33unit_backward_substitution_kernelI19rocblas_complex_numIdElPKPS3_EEvT0_S7_T1_S7_S7_llS8_S7_S7_ll.has_dyn_sized_stack, 0
	.set _ZN9rocsolver6v33100L33unit_backward_substitution_kernelI19rocblas_complex_numIdElPKPS3_EEvT0_S7_T1_S7_S7_llS8_S7_S7_ll.has_recursion, 0
	.set _ZN9rocsolver6v33100L33unit_backward_substitution_kernelI19rocblas_complex_numIdElPKPS3_EEvT0_S7_T1_S7_S7_llS8_S7_S7_ll.has_indirect_call, 0
	.section	.AMDGPU.csdata,"",@progbits
; Kernel info:
; codeLenInByte = 552
; TotalNumSgprs: 22
; NumVgprs: 24
; ScratchSize: 0
; MemoryBound: 0
; FloatMode: 240
; IeeeMode: 1
; LDSByteSize: 0 bytes/workgroup (compile time only)
; SGPRBlocks: 0
; VGPRBlocks: 1
; NumSGPRsForWavesPerEU: 22
; NumVGPRsForWavesPerEU: 24
; NamedBarCnt: 0
; Occupancy: 16
; WaveLimiterHint : 1
; COMPUTE_PGM_RSRC2:SCRATCH_EN: 0
; COMPUTE_PGM_RSRC2:USER_SGPR: 2
; COMPUTE_PGM_RSRC2:TRAP_HANDLER: 0
; COMPUTE_PGM_RSRC2:TGID_X_EN: 1
; COMPUTE_PGM_RSRC2:TGID_Y_EN: 1
; COMPUTE_PGM_RSRC2:TGID_Z_EN: 1
; COMPUTE_PGM_RSRC2:TIDIG_COMP_CNT: 1
	.section	.text._ZN9rocsolver6v33100L36nonunit_backward_substitution_kernelI19rocblas_complex_numIdElPKPS3_EEvT0_S7_T1_S7_S7_llS8_S7_S7_ll,"axG",@progbits,_ZN9rocsolver6v33100L36nonunit_backward_substitution_kernelI19rocblas_complex_numIdElPKPS3_EEvT0_S7_T1_S7_S7_llS8_S7_S7_ll,comdat
	.globl	_ZN9rocsolver6v33100L36nonunit_backward_substitution_kernelI19rocblas_complex_numIdElPKPS3_EEvT0_S7_T1_S7_S7_llS8_S7_S7_ll ; -- Begin function _ZN9rocsolver6v33100L36nonunit_backward_substitution_kernelI19rocblas_complex_numIdElPKPS3_EEvT0_S7_T1_S7_S7_llS8_S7_S7_ll
	.p2align	8
	.type	_ZN9rocsolver6v33100L36nonunit_backward_substitution_kernelI19rocblas_complex_numIdElPKPS3_EEvT0_S7_T1_S7_S7_llS8_S7_S7_ll,@function
_ZN9rocsolver6v33100L36nonunit_backward_substitution_kernelI19rocblas_complex_numIdElPKPS3_EEvT0_S7_T1_S7_S7_llS8_S7_S7_ll: ; @_ZN9rocsolver6v33100L36nonunit_backward_substitution_kernelI19rocblas_complex_numIdElPKPS3_EEvT0_S7_T1_S7_S7_llS8_S7_S7_ll
; %bb.0:
	s_clause 0x1
	s_load_u16 s3, s[0:1], 0x6e
	s_load_b256 s[4:11], s[0:1], 0x0
	s_bfe_u32 s2, ttmp6, 0x40010
	v_mov_b32_e32 v11, 0
	s_and_b32 s12, ttmp7, 0xffff
	s_add_co_i32 s2, s2, 1
	s_bfe_u32 s14, ttmp6, 0x40004
	s_mul_i32 s13, s12, s2
	s_getreg_b32 s2, hwreg(HW_REG_IB_STS2, 6, 4)
	v_bfe_u32 v4, v0, 10, 10
	v_mov_b32_e32 v5, v11
	s_add_co_i32 s14, s14, s13
	s_cmp_eq_u32 s2, 0
	s_cselect_b32 s12, s12, s14
	s_wait_kmcnt 0x0
	v_mad_nc_u64_u32 v[2:3], s3, s12, v[4:5]
	s_mov_b32 s3, exec_lo
	s_delay_alu instid0(VALU_DEP_1)
	v_cmpx_gt_i64_e64 s[6:7], v[2:3]
	s_cbranch_execz .LBB31_19
; %bb.1:
	s_load_b256 s[12:19], s[0:1], 0x38
	v_and_b32_e32 v10, 0x3ff, v0
	s_bfe_u32 s3, ttmp6, 0x40014
	s_lshr_b32 s6, ttmp7, 16
	s_add_co_i32 s3, s3, 1
	s_bfe_u32 s7, ttmp6, 0x40008
	s_mul_i32 s3, s6, s3
	s_delay_alu instid0(SALU_CYCLE_1)
	s_add_co_i32 s7, s7, s3
	s_cmp_eq_u32 s2, 0
	s_wait_kmcnt 0x0
	v_mul_u64_e32 v[0:1], s[14:15], v[10:11]
	v_mul_u64_e32 v[2:3], s[16:17], v[2:3]
	s_cselect_b32 s16, s6, s7
	s_lshl_b64 s[6:7], s[18:19], 4
	s_load_b64 s[2:3], s[12:13], s16 offset:0x0 scale_offset
	s_wait_kmcnt 0x0
	s_add_nc_u64 s[2:3], s[2:3], s[6:7]
	v_cmp_lt_i64_e64 s6, s[4:5], 2
	s_and_b32 vcc_lo, exec_lo, s6
	v_lshl_add_u64 v[0:1], v[0:1], 4, s[2:3]
	s_delay_alu instid0(VALU_DEP_1)
	v_lshl_add_u64 v[8:9], v[2:3], 4, v[0:1]
	flat_load_b128 v[0:3], v[8:9]
	s_load_b128 s[12:15], s[0:1], 0x20
	s_load_b64 s[2:3], s[8:9], s16 offset:0x0 scale_offset
	s_wait_kmcnt 0x0
	s_lshl_b64 s[0:1], s[14:15], 4
	s_delay_alu instid0(SALU_CYCLE_1)
	s_add_nc_u64 s[0:1], s[2:3], s[0:1]
	s_cbranch_vccnz .LBB31_12
; %bb.2:
	v_mul_u64_e32 v[6:7], s[10:11], v[10:11]
	s_add_nc_u64 s[2:3], s[12:13], s[10:11]
	v_lshl_add_u32 v16, v4, 4, 0
	v_mul_u64_e32 v[14:15], s[2:3], v[10:11]
	s_add_nc_u64 s[2:3], s[4:5], -1
	s_delay_alu instid0(SALU_CYCLE_1) | instskip(NEXT) | instid1(SALU_CYCLE_1)
	s_mul_u64 s[4:5], s[12:13], s[2:3]
	s_lshl_b64 s[4:5], s[4:5], 4
	s_delay_alu instid0(SALU_CYCLE_1)
	s_add_nc_u64 s[4:5], s[0:1], s[4:5]
	s_delay_alu instid0(VALU_DEP_3) | instid1(SALU_CYCLE_1)
	v_lshl_add_u64 v[6:7], v[6:7], 4, s[4:5]
	s_lshl_b64 s[4:5], s[12:13], 4
	s_delay_alu instid0(VALU_DEP_2) | instskip(SKIP_1) | instid1(VALU_DEP_2)
	v_lshl_add_u64 v[14:15], v[14:15], 4, s[0:1]
	s_sub_nc_u64 s[4:5], 0, s[4:5]
	v_add_nc_u64_e32 v[12:13], 8, v[6:7]
	s_branch .LBB31_4
.LBB31_3:                               ;   in Loop: Header=BB31_4 Depth=1
	s_or_b32 exec_lo, exec_lo, s6
	s_delay_alu instid0(VALU_DEP_2) | instskip(NEXT) | instid1(VALU_DEP_2)
	v_add_f64_e64 v[0:1], v[0:1], -v[6:7]
	v_add_f64_e64 v[2:3], v[2:3], -v[4:5]
	s_add_nc_u64 s[6:7], s[2:3], 1
	v_add_nc_u64_e32 v[12:13], s[4:5], v[12:13]
	v_cmp_lt_u64_e64 s6, s[6:7], 3
	s_add_nc_u64 s[2:3], s[2:3], -1
	s_and_b32 vcc_lo, exec_lo, s6
	s_cbranch_vccnz .LBB31_12
.LBB31_4:                               ; =>This Inner Loop Header: Depth=1
	s_mov_b32 s6, exec_lo
	s_wait_loadcnt_dscnt 0x0
	s_barrier_signal -1
	s_barrier_wait -1
	v_cmpx_eq_u64_e64 s[2:3], v[10:11]
	s_cbranch_execz .LBB31_10
; %bb.5:                                ;   in Loop: Header=BB31_4 Depth=1
	flat_load_b128 v[4:7], v[14:15]
	s_wait_loadcnt_dscnt 0x0
	v_cmp_ngt_f64_e64 s7, |v[4:5]|, |v[6:7]|
	s_and_saveexec_b32 s8, s7
	s_delay_alu instid0(SALU_CYCLE_1)
	s_xor_b32 s7, exec_lo, s8
	s_cbranch_execz .LBB31_7
; %bb.6:                                ;   in Loop: Header=BB31_4 Depth=1
	v_div_scale_f64 v[18:19], null, v[6:7], v[6:7], v[4:5]
	v_div_scale_f64 v[24:25], vcc_lo, v[4:5], v[6:7], v[4:5]
	s_delay_alu instid0(VALU_DEP_2) | instskip(SKIP_1) | instid1(TRANS32_DEP_1)
	v_rcp_f64_e32 v[20:21], v[18:19]
	v_nop
	v_fma_f64 v[22:23], -v[18:19], v[20:21], 1.0
	s_delay_alu instid0(VALU_DEP_1) | instskip(NEXT) | instid1(VALU_DEP_1)
	v_fmac_f64_e32 v[20:21], v[20:21], v[22:23]
	v_fma_f64 v[22:23], -v[18:19], v[20:21], 1.0
	s_delay_alu instid0(VALU_DEP_1) | instskip(NEXT) | instid1(VALU_DEP_1)
	v_fmac_f64_e32 v[20:21], v[20:21], v[22:23]
	v_mul_f64_e32 v[22:23], v[24:25], v[20:21]
	s_delay_alu instid0(VALU_DEP_1) | instskip(NEXT) | instid1(VALU_DEP_1)
	v_fma_f64 v[18:19], -v[18:19], v[22:23], v[24:25]
	v_div_fmas_f64 v[18:19], v[18:19], v[20:21], v[22:23]
	s_delay_alu instid0(VALU_DEP_1) | instskip(NEXT) | instid1(VALU_DEP_1)
	v_div_fixup_f64 v[18:19], v[18:19], v[6:7], v[4:5]
	v_fmac_f64_e32 v[6:7], v[4:5], v[18:19]
	s_delay_alu instid0(VALU_DEP_1) | instskip(SKIP_1) | instid1(VALU_DEP_2)
	v_div_scale_f64 v[4:5], null, v[6:7], v[6:7], 1.0
	v_div_scale_f64 v[24:25], vcc_lo, 1.0, v[6:7], 1.0
	v_rcp_f64_e32 v[20:21], v[4:5]
	v_nop
	s_delay_alu instid0(TRANS32_DEP_1) | instskip(NEXT) | instid1(VALU_DEP_1)
	v_fma_f64 v[22:23], -v[4:5], v[20:21], 1.0
	v_fmac_f64_e32 v[20:21], v[20:21], v[22:23]
	s_delay_alu instid0(VALU_DEP_1) | instskip(NEXT) | instid1(VALU_DEP_1)
	v_fma_f64 v[22:23], -v[4:5], v[20:21], 1.0
	v_fmac_f64_e32 v[20:21], v[20:21], v[22:23]
	s_delay_alu instid0(VALU_DEP_1) | instskip(NEXT) | instid1(VALU_DEP_1)
	v_mul_f64_e32 v[22:23], v[24:25], v[20:21]
	v_fma_f64 v[4:5], -v[4:5], v[22:23], v[24:25]
	s_delay_alu instid0(VALU_DEP_1) | instskip(NEXT) | instid1(VALU_DEP_1)
	v_div_fmas_f64 v[4:5], v[4:5], v[20:21], v[22:23]
	v_div_fixup_f64 v[4:5], v[4:5], v[6:7], 1.0
	v_fma_f64 v[6:7], v[0:1], v[18:19], v[2:3]
	v_fma_f64 v[0:1], v[2:3], v[18:19], -v[0:1]
	s_delay_alu instid0(VALU_DEP_2) | instskip(NEXT) | instid1(VALU_DEP_2)
	v_mul_f64_e32 v[6:7], v[6:7], v[4:5]
	v_mul_f64_e32 v[2:3], v[0:1], v[4:5]
	s_delay_alu instid0(VALU_DEP_2)
	v_mov_b64_e32 v[0:1], v[6:7]
                                        ; implicit-def: $vgpr4_vgpr5
.LBB31_7:                               ;   in Loop: Header=BB31_4 Depth=1
	s_and_not1_saveexec_b32 s7, s7
	s_cbranch_execz .LBB31_9
; %bb.8:                                ;   in Loop: Header=BB31_4 Depth=1
	v_div_scale_f64 v[18:19], null, v[4:5], v[4:5], v[6:7]
	v_div_scale_f64 v[24:25], vcc_lo, v[6:7], v[4:5], v[6:7]
	s_delay_alu instid0(VALU_DEP_2) | instskip(SKIP_1) | instid1(TRANS32_DEP_1)
	v_rcp_f64_e32 v[20:21], v[18:19]
	v_nop
	v_fma_f64 v[22:23], -v[18:19], v[20:21], 1.0
	s_delay_alu instid0(VALU_DEP_1) | instskip(NEXT) | instid1(VALU_DEP_1)
	v_fmac_f64_e32 v[20:21], v[20:21], v[22:23]
	v_fma_f64 v[22:23], -v[18:19], v[20:21], 1.0
	s_delay_alu instid0(VALU_DEP_1) | instskip(NEXT) | instid1(VALU_DEP_1)
	v_fmac_f64_e32 v[20:21], v[20:21], v[22:23]
	v_mul_f64_e32 v[22:23], v[24:25], v[20:21]
	s_delay_alu instid0(VALU_DEP_1) | instskip(NEXT) | instid1(VALU_DEP_1)
	v_fma_f64 v[18:19], -v[18:19], v[22:23], v[24:25]
	v_div_fmas_f64 v[18:19], v[18:19], v[20:21], v[22:23]
	s_delay_alu instid0(VALU_DEP_1) | instskip(NEXT) | instid1(VALU_DEP_1)
	v_div_fixup_f64 v[18:19], v[18:19], v[4:5], v[6:7]
	v_fmac_f64_e32 v[4:5], v[6:7], v[18:19]
	s_delay_alu instid0(VALU_DEP_1) | instskip(SKIP_1) | instid1(VALU_DEP_2)
	v_div_scale_f64 v[6:7], null, v[4:5], v[4:5], 1.0
	v_div_scale_f64 v[24:25], vcc_lo, 1.0, v[4:5], 1.0
	v_rcp_f64_e32 v[20:21], v[6:7]
	v_nop
	s_delay_alu instid0(TRANS32_DEP_1) | instskip(NEXT) | instid1(VALU_DEP_1)
	v_fma_f64 v[22:23], -v[6:7], v[20:21], 1.0
	v_fmac_f64_e32 v[20:21], v[20:21], v[22:23]
	s_delay_alu instid0(VALU_DEP_1) | instskip(NEXT) | instid1(VALU_DEP_1)
	v_fma_f64 v[22:23], -v[6:7], v[20:21], 1.0
	v_fmac_f64_e32 v[20:21], v[20:21], v[22:23]
	s_delay_alu instid0(VALU_DEP_1) | instskip(NEXT) | instid1(VALU_DEP_1)
	v_mul_f64_e32 v[22:23], v[24:25], v[20:21]
	v_fma_f64 v[6:7], -v[6:7], v[22:23], v[24:25]
	s_delay_alu instid0(VALU_DEP_1) | instskip(NEXT) | instid1(VALU_DEP_1)
	v_div_fmas_f64 v[6:7], v[6:7], v[20:21], v[22:23]
	v_div_fixup_f64 v[4:5], v[6:7], v[4:5], 1.0
	v_fma_f64 v[6:7], v[2:3], v[18:19], v[0:1]
	v_fma_f64 v[0:1], -v[0:1], v[18:19], v[2:3]
	s_delay_alu instid0(VALU_DEP_2) | instskip(NEXT) | instid1(VALU_DEP_2)
	v_mul_f64_e32 v[6:7], v[6:7], v[4:5]
	v_mul_f64_e32 v[2:3], v[0:1], v[4:5]
	s_delay_alu instid0(VALU_DEP_2)
	v_mov_b64_e32 v[0:1], v[6:7]
.LBB31_9:                               ;   in Loop: Header=BB31_4 Depth=1
	s_or_b32 exec_lo, exec_lo, s7
	ds_store_2addr_b64 v16, v[0:1], v[2:3] offset1:1
.LBB31_10:                              ;   in Loop: Header=BB31_4 Depth=1
	s_or_b32 exec_lo, exec_lo, s6
	v_mov_b64_e32 v[4:5], 0
	v_mov_b64_e32 v[6:7], 0
	s_mov_b32 s6, exec_lo
	s_wait_dscnt 0x0
	s_barrier_signal -1
	s_barrier_wait -1
	v_cmpx_gt_i64_e64 s[2:3], v[10:11]
	s_cbranch_execz .LBB31_3
; %bb.11:                               ;   in Loop: Header=BB31_4 Depth=1
	flat_load_b128 v[18:21], v[12:13] offset:-8
	ds_load_2addr_b64 v[22:25], v16 offset1:1
	s_wait_loadcnt_dscnt 0x0
	v_mul_f64_e32 v[6:7], v[24:25], v[20:21]
	v_mul_f64_e32 v[4:5], v[22:23], v[20:21]
	s_delay_alu instid0(VALU_DEP_2) | instskip(NEXT) | instid1(VALU_DEP_2)
	v_fma_f64 v[6:7], v[22:23], v[18:19], -v[6:7]
	v_fmac_f64_e32 v[4:5], v[24:25], v[18:19]
	s_branch .LBB31_3
.LBB31_12:
	s_mov_b32 s2, exec_lo
	v_cmpx_eq_u32_e32 0, v10
	s_cbranch_execz .LBB31_18
; %bb.13:
	v_mov_b32_e32 v4, 0
	flat_load_b128 v[4:7], v4, s[0:1]
	s_wait_loadcnt_dscnt 0x0
	v_cmp_ngt_f64_e64 s0, |v[4:5]|, |v[6:7]|
	s_and_saveexec_b32 s1, s0
	s_delay_alu instid0(SALU_CYCLE_1)
	s_xor_b32 s0, exec_lo, s1
	s_cbranch_execz .LBB31_15
; %bb.14:
	v_div_scale_f64 v[10:11], null, v[6:7], v[6:7], v[4:5]
	v_div_scale_f64 v[16:17], vcc_lo, v[4:5], v[6:7], v[4:5]
	s_delay_alu instid0(VALU_DEP_2) | instskip(SKIP_1) | instid1(TRANS32_DEP_1)
	v_rcp_f64_e32 v[12:13], v[10:11]
	v_nop
	v_fma_f64 v[14:15], -v[10:11], v[12:13], 1.0
	s_delay_alu instid0(VALU_DEP_1) | instskip(NEXT) | instid1(VALU_DEP_1)
	v_fmac_f64_e32 v[12:13], v[12:13], v[14:15]
	v_fma_f64 v[14:15], -v[10:11], v[12:13], 1.0
	s_delay_alu instid0(VALU_DEP_1) | instskip(NEXT) | instid1(VALU_DEP_1)
	v_fmac_f64_e32 v[12:13], v[12:13], v[14:15]
	v_mul_f64_e32 v[14:15], v[16:17], v[12:13]
	s_delay_alu instid0(VALU_DEP_1) | instskip(NEXT) | instid1(VALU_DEP_1)
	v_fma_f64 v[10:11], -v[10:11], v[14:15], v[16:17]
	v_div_fmas_f64 v[10:11], v[10:11], v[12:13], v[14:15]
	s_delay_alu instid0(VALU_DEP_1) | instskip(NEXT) | instid1(VALU_DEP_1)
	v_div_fixup_f64 v[10:11], v[10:11], v[6:7], v[4:5]
	v_fmac_f64_e32 v[6:7], v[4:5], v[10:11]
	s_delay_alu instid0(VALU_DEP_1) | instskip(SKIP_1) | instid1(VALU_DEP_2)
	v_div_scale_f64 v[4:5], null, v[6:7], v[6:7], 1.0
	v_div_scale_f64 v[16:17], vcc_lo, 1.0, v[6:7], 1.0
	v_rcp_f64_e32 v[12:13], v[4:5]
	v_nop
	s_delay_alu instid0(TRANS32_DEP_1) | instskip(NEXT) | instid1(VALU_DEP_1)
	v_fma_f64 v[14:15], -v[4:5], v[12:13], 1.0
	v_fmac_f64_e32 v[12:13], v[12:13], v[14:15]
	s_delay_alu instid0(VALU_DEP_1) | instskip(NEXT) | instid1(VALU_DEP_1)
	v_fma_f64 v[14:15], -v[4:5], v[12:13], 1.0
	v_fmac_f64_e32 v[12:13], v[12:13], v[14:15]
	s_delay_alu instid0(VALU_DEP_1) | instskip(NEXT) | instid1(VALU_DEP_1)
	v_mul_f64_e32 v[14:15], v[16:17], v[12:13]
	v_fma_f64 v[4:5], -v[4:5], v[14:15], v[16:17]
	s_delay_alu instid0(VALU_DEP_1) | instskip(NEXT) | instid1(VALU_DEP_1)
	v_div_fmas_f64 v[4:5], v[4:5], v[12:13], v[14:15]
	v_div_fixup_f64 v[4:5], v[4:5], v[6:7], 1.0
	v_fma_f64 v[6:7], v[0:1], v[10:11], v[2:3]
	v_fma_f64 v[0:1], v[2:3], v[10:11], -v[0:1]
	s_delay_alu instid0(VALU_DEP_2) | instskip(NEXT) | instid1(VALU_DEP_2)
	v_mul_f64_e32 v[6:7], v[6:7], v[4:5]
	v_mul_f64_e32 v[2:3], v[0:1], v[4:5]
	s_delay_alu instid0(VALU_DEP_2)
	v_mov_b64_e32 v[0:1], v[6:7]
                                        ; implicit-def: $vgpr4_vgpr5
.LBB31_15:
	s_and_not1_saveexec_b32 s0, s0
	s_cbranch_execz .LBB31_17
; %bb.16:
	v_div_scale_f64 v[10:11], null, v[4:5], v[4:5], v[6:7]
	v_div_scale_f64 v[16:17], vcc_lo, v[6:7], v[4:5], v[6:7]
	s_delay_alu instid0(VALU_DEP_2) | instskip(SKIP_1) | instid1(TRANS32_DEP_1)
	v_rcp_f64_e32 v[12:13], v[10:11]
	v_nop
	v_fma_f64 v[14:15], -v[10:11], v[12:13], 1.0
	s_delay_alu instid0(VALU_DEP_1) | instskip(NEXT) | instid1(VALU_DEP_1)
	v_fmac_f64_e32 v[12:13], v[12:13], v[14:15]
	v_fma_f64 v[14:15], -v[10:11], v[12:13], 1.0
	s_delay_alu instid0(VALU_DEP_1) | instskip(NEXT) | instid1(VALU_DEP_1)
	v_fmac_f64_e32 v[12:13], v[12:13], v[14:15]
	v_mul_f64_e32 v[14:15], v[16:17], v[12:13]
	s_delay_alu instid0(VALU_DEP_1) | instskip(NEXT) | instid1(VALU_DEP_1)
	v_fma_f64 v[10:11], -v[10:11], v[14:15], v[16:17]
	v_div_fmas_f64 v[10:11], v[10:11], v[12:13], v[14:15]
	s_delay_alu instid0(VALU_DEP_1) | instskip(NEXT) | instid1(VALU_DEP_1)
	v_div_fixup_f64 v[10:11], v[10:11], v[4:5], v[6:7]
	v_fmac_f64_e32 v[4:5], v[6:7], v[10:11]
	s_delay_alu instid0(VALU_DEP_1) | instskip(SKIP_1) | instid1(VALU_DEP_2)
	v_div_scale_f64 v[6:7], null, v[4:5], v[4:5], 1.0
	v_div_scale_f64 v[16:17], vcc_lo, 1.0, v[4:5], 1.0
	v_rcp_f64_e32 v[12:13], v[6:7]
	v_nop
	s_delay_alu instid0(TRANS32_DEP_1) | instskip(NEXT) | instid1(VALU_DEP_1)
	v_fma_f64 v[14:15], -v[6:7], v[12:13], 1.0
	v_fmac_f64_e32 v[12:13], v[12:13], v[14:15]
	s_delay_alu instid0(VALU_DEP_1) | instskip(NEXT) | instid1(VALU_DEP_1)
	v_fma_f64 v[14:15], -v[6:7], v[12:13], 1.0
	v_fmac_f64_e32 v[12:13], v[12:13], v[14:15]
	s_delay_alu instid0(VALU_DEP_1) | instskip(NEXT) | instid1(VALU_DEP_1)
	v_mul_f64_e32 v[14:15], v[16:17], v[12:13]
	v_fma_f64 v[6:7], -v[6:7], v[14:15], v[16:17]
	s_delay_alu instid0(VALU_DEP_1) | instskip(NEXT) | instid1(VALU_DEP_1)
	v_div_fmas_f64 v[6:7], v[6:7], v[12:13], v[14:15]
	v_div_fixup_f64 v[4:5], v[6:7], v[4:5], 1.0
	v_fma_f64 v[6:7], v[2:3], v[10:11], v[0:1]
	v_fma_f64 v[0:1], -v[0:1], v[10:11], v[2:3]
	s_delay_alu instid0(VALU_DEP_2) | instskip(NEXT) | instid1(VALU_DEP_2)
	v_mul_f64_e32 v[6:7], v[6:7], v[4:5]
	v_mul_f64_e32 v[2:3], v[0:1], v[4:5]
	s_delay_alu instid0(VALU_DEP_2)
	v_mov_b64_e32 v[0:1], v[6:7]
.LBB31_17:
	s_or_b32 exec_lo, exec_lo, s0
.LBB31_18:
	s_delay_alu instid0(SALU_CYCLE_1)
	s_or_b32 exec_lo, exec_lo, s2
	s_wait_loadcnt_dscnt 0x0
	flat_store_b128 v[8:9], v[0:3]
.LBB31_19:
	s_endpgm
	.section	.rodata,"a",@progbits
	.p2align	6, 0x0
	.amdhsa_kernel _ZN9rocsolver6v33100L36nonunit_backward_substitution_kernelI19rocblas_complex_numIdElPKPS3_EEvT0_S7_T1_S7_S7_llS8_S7_S7_ll
		.amdhsa_group_segment_fixed_size 0
		.amdhsa_private_segment_fixed_size 0
		.amdhsa_kernarg_size 352
		.amdhsa_user_sgpr_count 2
		.amdhsa_user_sgpr_dispatch_ptr 0
		.amdhsa_user_sgpr_queue_ptr 0
		.amdhsa_user_sgpr_kernarg_segment_ptr 1
		.amdhsa_user_sgpr_dispatch_id 0
		.amdhsa_user_sgpr_kernarg_preload_length 0
		.amdhsa_user_sgpr_kernarg_preload_offset 0
		.amdhsa_user_sgpr_private_segment_size 0
		.amdhsa_wavefront_size32 1
		.amdhsa_uses_dynamic_stack 0
		.amdhsa_enable_private_segment 0
		.amdhsa_system_sgpr_workgroup_id_x 1
		.amdhsa_system_sgpr_workgroup_id_y 1
		.amdhsa_system_sgpr_workgroup_id_z 1
		.amdhsa_system_sgpr_workgroup_info 0
		.amdhsa_system_vgpr_workitem_id 1
		.amdhsa_next_free_vgpr 26
		.amdhsa_next_free_sgpr 20
		.amdhsa_named_barrier_count 0
		.amdhsa_reserve_vcc 1
		.amdhsa_float_round_mode_32 0
		.amdhsa_float_round_mode_16_64 0
		.amdhsa_float_denorm_mode_32 3
		.amdhsa_float_denorm_mode_16_64 3
		.amdhsa_fp16_overflow 0
		.amdhsa_memory_ordered 1
		.amdhsa_forward_progress 1
		.amdhsa_inst_pref_size 13
		.amdhsa_round_robin_scheduling 0
		.amdhsa_exception_fp_ieee_invalid_op 0
		.amdhsa_exception_fp_denorm_src 0
		.amdhsa_exception_fp_ieee_div_zero 0
		.amdhsa_exception_fp_ieee_overflow 0
		.amdhsa_exception_fp_ieee_underflow 0
		.amdhsa_exception_fp_ieee_inexact 0
		.amdhsa_exception_int_div_zero 0
	.end_amdhsa_kernel
	.section	.text._ZN9rocsolver6v33100L36nonunit_backward_substitution_kernelI19rocblas_complex_numIdElPKPS3_EEvT0_S7_T1_S7_S7_llS8_S7_S7_ll,"axG",@progbits,_ZN9rocsolver6v33100L36nonunit_backward_substitution_kernelI19rocblas_complex_numIdElPKPS3_EEvT0_S7_T1_S7_S7_llS8_S7_S7_ll,comdat
.Lfunc_end31:
	.size	_ZN9rocsolver6v33100L36nonunit_backward_substitution_kernelI19rocblas_complex_numIdElPKPS3_EEvT0_S7_T1_S7_S7_llS8_S7_S7_ll, .Lfunc_end31-_ZN9rocsolver6v33100L36nonunit_backward_substitution_kernelI19rocblas_complex_numIdElPKPS3_EEvT0_S7_T1_S7_S7_llS8_S7_S7_ll
                                        ; -- End function
	.set _ZN9rocsolver6v33100L36nonunit_backward_substitution_kernelI19rocblas_complex_numIdElPKPS3_EEvT0_S7_T1_S7_S7_llS8_S7_S7_ll.num_vgpr, 26
	.set _ZN9rocsolver6v33100L36nonunit_backward_substitution_kernelI19rocblas_complex_numIdElPKPS3_EEvT0_S7_T1_S7_S7_llS8_S7_S7_ll.num_agpr, 0
	.set _ZN9rocsolver6v33100L36nonunit_backward_substitution_kernelI19rocblas_complex_numIdElPKPS3_EEvT0_S7_T1_S7_S7_llS8_S7_S7_ll.numbered_sgpr, 20
	.set _ZN9rocsolver6v33100L36nonunit_backward_substitution_kernelI19rocblas_complex_numIdElPKPS3_EEvT0_S7_T1_S7_S7_llS8_S7_S7_ll.num_named_barrier, 0
	.set _ZN9rocsolver6v33100L36nonunit_backward_substitution_kernelI19rocblas_complex_numIdElPKPS3_EEvT0_S7_T1_S7_S7_llS8_S7_S7_ll.private_seg_size, 0
	.set _ZN9rocsolver6v33100L36nonunit_backward_substitution_kernelI19rocblas_complex_numIdElPKPS3_EEvT0_S7_T1_S7_S7_llS8_S7_S7_ll.uses_vcc, 1
	.set _ZN9rocsolver6v33100L36nonunit_backward_substitution_kernelI19rocblas_complex_numIdElPKPS3_EEvT0_S7_T1_S7_S7_llS8_S7_S7_ll.uses_flat_scratch, 0
	.set _ZN9rocsolver6v33100L36nonunit_backward_substitution_kernelI19rocblas_complex_numIdElPKPS3_EEvT0_S7_T1_S7_S7_llS8_S7_S7_ll.has_dyn_sized_stack, 0
	.set _ZN9rocsolver6v33100L36nonunit_backward_substitution_kernelI19rocblas_complex_numIdElPKPS3_EEvT0_S7_T1_S7_S7_llS8_S7_S7_ll.has_recursion, 0
	.set _ZN9rocsolver6v33100L36nonunit_backward_substitution_kernelI19rocblas_complex_numIdElPKPS3_EEvT0_S7_T1_S7_S7_llS8_S7_S7_ll.has_indirect_call, 0
	.section	.AMDGPU.csdata,"",@progbits
; Kernel info:
; codeLenInByte = 1628
; TotalNumSgprs: 22
; NumVgprs: 26
; ScratchSize: 0
; MemoryBound: 0
; FloatMode: 240
; IeeeMode: 1
; LDSByteSize: 0 bytes/workgroup (compile time only)
; SGPRBlocks: 0
; VGPRBlocks: 1
; NumSGPRsForWavesPerEU: 22
; NumVGPRsForWavesPerEU: 26
; NamedBarCnt: 0
; Occupancy: 16
; WaveLimiterHint : 1
; COMPUTE_PGM_RSRC2:SCRATCH_EN: 0
; COMPUTE_PGM_RSRC2:USER_SGPR: 2
; COMPUTE_PGM_RSRC2:TRAP_HANDLER: 0
; COMPUTE_PGM_RSRC2:TGID_X_EN: 1
; COMPUTE_PGM_RSRC2:TGID_Y_EN: 1
; COMPUTE_PGM_RSRC2:TGID_Z_EN: 1
; COMPUTE_PGM_RSRC2:TIDIG_COMP_CNT: 1
	.section	.AMDGPU.gpr_maximums,"",@progbits
	.set amdgpu.max_num_vgpr, 0
	.set amdgpu.max_num_agpr, 0
	.set amdgpu.max_num_sgpr, 0
	.section	.AMDGPU.csdata,"",@progbits
	.type	__hip_cuid_69fa5e89afd35d35,@object ; @__hip_cuid_69fa5e89afd35d35
	.section	.bss,"aw",@nobits
	.globl	__hip_cuid_69fa5e89afd35d35
__hip_cuid_69fa5e89afd35d35:
	.byte	0                               ; 0x0
	.size	__hip_cuid_69fa5e89afd35d35, 1

	.ident	"AMD clang version 22.0.0git (https://github.com/RadeonOpenCompute/llvm-project roc-7.2.4 26084 f58b06dce1f9c15707c5f808fd002e18c2accf7e)"
	.section	".note.GNU-stack","",@progbits
	.addrsig
	.addrsig_sym __hip_cuid_69fa5e89afd35d35
	.amdgpu_metadata
---
amdhsa.kernels:
  - .args:
      - .offset:         0
        .size:           4
        .value_kind:     by_value
      - .offset:         4
        .size:           4
        .value_kind:     by_value
      - .address_space:  global
        .offset:         8
        .size:           8
        .value_kind:     global_buffer
      - .offset:         16
        .size:           4
        .value_kind:     by_value
      - .offset:         20
        .size:           4
        .value_kind:     by_value
      - .offset:         24
        .size:           8
        .value_kind:     by_value
      - .offset:         32
        .size:           8
        .value_kind:     by_value
      - .address_space:  global
        .offset:         40
        .size:           8
        .value_kind:     global_buffer
      - .offset:         48
        .size:           4
        .value_kind:     by_value
      - .offset:         52
        .size:           4
        .value_kind:     by_value
      - .offset:         56
        .size:           8
        .value_kind:     by_value
      - .offset:         64
        .size:           8
        .value_kind:     by_value
      - .offset:         72
        .size:           4
        .value_kind:     hidden_block_count_x
      - .offset:         76
        .size:           4
        .value_kind:     hidden_block_count_y
      - .offset:         80
        .size:           4
        .value_kind:     hidden_block_count_z
      - .offset:         84
        .size:           2
        .value_kind:     hidden_group_size_x
      - .offset:         86
        .size:           2
        .value_kind:     hidden_group_size_y
      - .offset:         88
        .size:           2
        .value_kind:     hidden_group_size_z
      - .offset:         90
        .size:           2
        .value_kind:     hidden_remainder_x
      - .offset:         92
        .size:           2
        .value_kind:     hidden_remainder_y
      - .offset:         94
        .size:           2
        .value_kind:     hidden_remainder_z
      - .offset:         112
        .size:           8
        .value_kind:     hidden_global_offset_x
      - .offset:         120
        .size:           8
        .value_kind:     hidden_global_offset_y
      - .offset:         128
        .size:           8
        .value_kind:     hidden_global_offset_z
      - .offset:         136
        .size:           2
        .value_kind:     hidden_grid_dims
      - .offset:         192
        .size:           4
        .value_kind:     hidden_dynamic_lds_size
    .group_segment_fixed_size: 0
    .kernarg_segment_align: 8
    .kernarg_segment_size: 328
    .language:       OpenCL C
    .language_version:
      - 2
      - 0
    .max_flat_workgroup_size: 1024
    .name:           _ZN9rocsolver6v33100L37conj_unit_forward_substitution_kernelI19rocblas_complex_numIdEiPS3_EEvT0_S5_T1_S5_S5_llS6_S5_S5_ll
    .private_segment_fixed_size: 0
    .sgpr_count:     16
    .sgpr_spill_count: 0
    .symbol:         _ZN9rocsolver6v33100L37conj_unit_forward_substitution_kernelI19rocblas_complex_numIdEiPS3_EEvT0_S5_T1_S5_S5_llS6_S5_S5_ll.kd
    .uniform_work_group_size: 1
    .uses_dynamic_stack: false
    .vgpr_count:     22
    .vgpr_spill_count: 0
    .wavefront_size: 32
  - .args:
      - .offset:         0
        .size:           4
        .value_kind:     by_value
      - .offset:         4
        .size:           4
        .value_kind:     by_value
      - .address_space:  global
        .offset:         8
        .size:           8
        .value_kind:     global_buffer
      - .offset:         16
        .size:           4
        .value_kind:     by_value
      - .offset:         20
        .size:           4
        .value_kind:     by_value
      - .offset:         24
        .size:           8
        .value_kind:     by_value
      - .offset:         32
        .size:           8
        .value_kind:     by_value
      - .address_space:  global
        .offset:         40
        .size:           8
        .value_kind:     global_buffer
      - .offset:         48
        .size:           4
        .value_kind:     by_value
      - .offset:         52
        .size:           4
        .value_kind:     by_value
      - .offset:         56
        .size:           8
        .value_kind:     by_value
      - .offset:         64
        .size:           8
        .value_kind:     by_value
      - .offset:         72
        .size:           4
        .value_kind:     hidden_block_count_x
      - .offset:         76
        .size:           4
        .value_kind:     hidden_block_count_y
      - .offset:         80
        .size:           4
        .value_kind:     hidden_block_count_z
      - .offset:         84
        .size:           2
        .value_kind:     hidden_group_size_x
      - .offset:         86
        .size:           2
        .value_kind:     hidden_group_size_y
      - .offset:         88
        .size:           2
        .value_kind:     hidden_group_size_z
      - .offset:         90
        .size:           2
        .value_kind:     hidden_remainder_x
      - .offset:         92
        .size:           2
        .value_kind:     hidden_remainder_y
      - .offset:         94
        .size:           2
        .value_kind:     hidden_remainder_z
      - .offset:         112
        .size:           8
        .value_kind:     hidden_global_offset_x
      - .offset:         120
        .size:           8
        .value_kind:     hidden_global_offset_y
      - .offset:         128
        .size:           8
        .value_kind:     hidden_global_offset_z
      - .offset:         136
        .size:           2
        .value_kind:     hidden_grid_dims
      - .offset:         192
        .size:           4
        .value_kind:     hidden_dynamic_lds_size
    .group_segment_fixed_size: 0
    .kernarg_segment_align: 8
    .kernarg_segment_size: 328
    .language:       OpenCL C
    .language_version:
      - 2
      - 0
    .max_flat_workgroup_size: 1024
    .name:           _ZN9rocsolver6v33100L40conj_nonunit_forward_substitution_kernelI19rocblas_complex_numIdEiPS3_EEvT0_S5_T1_S5_S5_llS6_S5_S5_ll
    .private_segment_fixed_size: 0
    .sgpr_count:     18
    .sgpr_spill_count: 0
    .symbol:         _ZN9rocsolver6v33100L40conj_nonunit_forward_substitution_kernelI19rocblas_complex_numIdEiPS3_EEvT0_S5_T1_S5_S5_llS6_S5_S5_ll.kd
    .uniform_work_group_size: 1
    .uses_dynamic_stack: false
    .vgpr_count:     24
    .vgpr_spill_count: 0
    .wavefront_size: 32
  - .args:
      - .offset:         0
        .size:           4
        .value_kind:     by_value
      - .offset:         4
        .size:           4
        .value_kind:     by_value
      - .address_space:  global
        .offset:         8
        .size:           8
        .value_kind:     global_buffer
      - .offset:         16
        .size:           4
        .value_kind:     by_value
      - .offset:         20
        .size:           4
        .value_kind:     by_value
      - .offset:         24
        .size:           8
        .value_kind:     by_value
      - .offset:         32
        .size:           8
        .value_kind:     by_value
      - .address_space:  global
        .offset:         40
        .size:           8
        .value_kind:     global_buffer
      - .offset:         48
        .size:           4
        .value_kind:     by_value
      - .offset:         52
        .size:           4
        .value_kind:     by_value
      - .offset:         56
        .size:           8
        .value_kind:     by_value
      - .offset:         64
        .size:           8
        .value_kind:     by_value
      - .offset:         72
        .size:           4
        .value_kind:     hidden_block_count_x
      - .offset:         76
        .size:           4
        .value_kind:     hidden_block_count_y
      - .offset:         80
        .size:           4
        .value_kind:     hidden_block_count_z
      - .offset:         84
        .size:           2
        .value_kind:     hidden_group_size_x
      - .offset:         86
        .size:           2
        .value_kind:     hidden_group_size_y
      - .offset:         88
        .size:           2
        .value_kind:     hidden_group_size_z
      - .offset:         90
        .size:           2
        .value_kind:     hidden_remainder_x
      - .offset:         92
        .size:           2
        .value_kind:     hidden_remainder_y
      - .offset:         94
        .size:           2
        .value_kind:     hidden_remainder_z
      - .offset:         112
        .size:           8
        .value_kind:     hidden_global_offset_x
      - .offset:         120
        .size:           8
        .value_kind:     hidden_global_offset_y
      - .offset:         128
        .size:           8
        .value_kind:     hidden_global_offset_z
      - .offset:         136
        .size:           2
        .value_kind:     hidden_grid_dims
      - .offset:         192
        .size:           4
        .value_kind:     hidden_dynamic_lds_size
    .group_segment_fixed_size: 0
    .kernarg_segment_align: 8
    .kernarg_segment_size: 328
    .language:       OpenCL C
    .language_version:
      - 2
      - 0
    .max_flat_workgroup_size: 1024
    .name:           _ZN9rocsolver6v33100L32unit_forward_substitution_kernelI19rocblas_complex_numIdEiPS3_EEvT0_S5_T1_S5_S5_llS6_S5_S5_ll
    .private_segment_fixed_size: 0
    .sgpr_count:     16
    .sgpr_spill_count: 0
    .symbol:         _ZN9rocsolver6v33100L32unit_forward_substitution_kernelI19rocblas_complex_numIdEiPS3_EEvT0_S5_T1_S5_S5_llS6_S5_S5_ll.kd
    .uniform_work_group_size: 1
    .uses_dynamic_stack: false
    .vgpr_count:     22
    .vgpr_spill_count: 0
    .wavefront_size: 32
  - .args:
      - .offset:         0
        .size:           4
        .value_kind:     by_value
      - .offset:         4
        .size:           4
        .value_kind:     by_value
      - .address_space:  global
        .offset:         8
        .size:           8
        .value_kind:     global_buffer
      - .offset:         16
        .size:           4
        .value_kind:     by_value
      - .offset:         20
        .size:           4
        .value_kind:     by_value
      - .offset:         24
        .size:           8
        .value_kind:     by_value
      - .offset:         32
        .size:           8
        .value_kind:     by_value
      - .address_space:  global
        .offset:         40
        .size:           8
        .value_kind:     global_buffer
      - .offset:         48
        .size:           4
        .value_kind:     by_value
      - .offset:         52
        .size:           4
        .value_kind:     by_value
      - .offset:         56
        .size:           8
        .value_kind:     by_value
      - .offset:         64
        .size:           8
        .value_kind:     by_value
      - .offset:         72
        .size:           4
        .value_kind:     hidden_block_count_x
      - .offset:         76
        .size:           4
        .value_kind:     hidden_block_count_y
      - .offset:         80
        .size:           4
        .value_kind:     hidden_block_count_z
      - .offset:         84
        .size:           2
        .value_kind:     hidden_group_size_x
      - .offset:         86
        .size:           2
        .value_kind:     hidden_group_size_y
      - .offset:         88
        .size:           2
        .value_kind:     hidden_group_size_z
      - .offset:         90
        .size:           2
        .value_kind:     hidden_remainder_x
      - .offset:         92
        .size:           2
        .value_kind:     hidden_remainder_y
      - .offset:         94
        .size:           2
        .value_kind:     hidden_remainder_z
      - .offset:         112
        .size:           8
        .value_kind:     hidden_global_offset_x
      - .offset:         120
        .size:           8
        .value_kind:     hidden_global_offset_y
      - .offset:         128
        .size:           8
        .value_kind:     hidden_global_offset_z
      - .offset:         136
        .size:           2
        .value_kind:     hidden_grid_dims
      - .offset:         192
        .size:           4
        .value_kind:     hidden_dynamic_lds_size
    .group_segment_fixed_size: 0
    .kernarg_segment_align: 8
    .kernarg_segment_size: 328
    .language:       OpenCL C
    .language_version:
      - 2
      - 0
    .max_flat_workgroup_size: 1024
    .name:           _ZN9rocsolver6v33100L35nonunit_forward_substitution_kernelI19rocblas_complex_numIdEiPS3_EEvT0_S5_T1_S5_S5_llS6_S5_S5_ll
    .private_segment_fixed_size: 0
    .sgpr_count:     18
    .sgpr_spill_count: 0
    .symbol:         _ZN9rocsolver6v33100L35nonunit_forward_substitution_kernelI19rocblas_complex_numIdEiPS3_EEvT0_S5_T1_S5_S5_llS6_S5_S5_ll.kd
    .uniform_work_group_size: 1
    .uses_dynamic_stack: false
    .vgpr_count:     24
    .vgpr_spill_count: 0
    .wavefront_size: 32
  - .args:
      - .offset:         0
        .size:           4
        .value_kind:     by_value
      - .offset:         4
        .size:           4
        .value_kind:     by_value
      - .address_space:  global
        .offset:         8
        .size:           8
        .value_kind:     global_buffer
      - .offset:         16
        .size:           4
        .value_kind:     by_value
      - .offset:         20
        .size:           4
        .value_kind:     by_value
      - .offset:         24
        .size:           8
        .value_kind:     by_value
      - .offset:         32
        .size:           8
        .value_kind:     by_value
      - .address_space:  global
        .offset:         40
        .size:           8
        .value_kind:     global_buffer
      - .offset:         48
        .size:           4
        .value_kind:     by_value
      - .offset:         52
        .size:           4
        .value_kind:     by_value
      - .offset:         56
        .size:           8
        .value_kind:     by_value
      - .offset:         64
        .size:           8
        .value_kind:     by_value
      - .offset:         72
        .size:           4
        .value_kind:     hidden_block_count_x
      - .offset:         76
        .size:           4
        .value_kind:     hidden_block_count_y
      - .offset:         80
        .size:           4
        .value_kind:     hidden_block_count_z
      - .offset:         84
        .size:           2
        .value_kind:     hidden_group_size_x
      - .offset:         86
        .size:           2
        .value_kind:     hidden_group_size_y
      - .offset:         88
        .size:           2
        .value_kind:     hidden_group_size_z
      - .offset:         90
        .size:           2
        .value_kind:     hidden_remainder_x
      - .offset:         92
        .size:           2
        .value_kind:     hidden_remainder_y
      - .offset:         94
        .size:           2
        .value_kind:     hidden_remainder_z
      - .offset:         112
        .size:           8
        .value_kind:     hidden_global_offset_x
      - .offset:         120
        .size:           8
        .value_kind:     hidden_global_offset_y
      - .offset:         128
        .size:           8
        .value_kind:     hidden_global_offset_z
      - .offset:         136
        .size:           2
        .value_kind:     hidden_grid_dims
      - .offset:         192
        .size:           4
        .value_kind:     hidden_dynamic_lds_size
    .group_segment_fixed_size: 0
    .kernarg_segment_align: 8
    .kernarg_segment_size: 328
    .language:       OpenCL C
    .language_version:
      - 2
      - 0
    .max_flat_workgroup_size: 1024
    .name:           _ZN9rocsolver6v33100L38conj_unit_backward_substitution_kernelI19rocblas_complex_numIdEiPS3_EEvT0_S5_T1_S5_S5_llS6_S5_S5_ll
    .private_segment_fixed_size: 0
    .sgpr_count:     16
    .sgpr_spill_count: 0
    .symbol:         _ZN9rocsolver6v33100L38conj_unit_backward_substitution_kernelI19rocblas_complex_numIdEiPS3_EEvT0_S5_T1_S5_S5_llS6_S5_S5_ll.kd
    .uniform_work_group_size: 1
    .uses_dynamic_stack: false
    .vgpr_count:     22
    .vgpr_spill_count: 0
    .wavefront_size: 32
  - .args:
      - .offset:         0
        .size:           4
        .value_kind:     by_value
      - .offset:         4
        .size:           4
        .value_kind:     by_value
      - .address_space:  global
        .offset:         8
        .size:           8
        .value_kind:     global_buffer
      - .offset:         16
        .size:           4
        .value_kind:     by_value
      - .offset:         20
        .size:           4
        .value_kind:     by_value
      - .offset:         24
        .size:           8
        .value_kind:     by_value
      - .offset:         32
        .size:           8
        .value_kind:     by_value
      - .address_space:  global
        .offset:         40
        .size:           8
        .value_kind:     global_buffer
      - .offset:         48
        .size:           4
        .value_kind:     by_value
      - .offset:         52
        .size:           4
        .value_kind:     by_value
      - .offset:         56
        .size:           8
        .value_kind:     by_value
      - .offset:         64
        .size:           8
        .value_kind:     by_value
      - .offset:         72
        .size:           4
        .value_kind:     hidden_block_count_x
      - .offset:         76
        .size:           4
        .value_kind:     hidden_block_count_y
      - .offset:         80
        .size:           4
        .value_kind:     hidden_block_count_z
      - .offset:         84
        .size:           2
        .value_kind:     hidden_group_size_x
      - .offset:         86
        .size:           2
        .value_kind:     hidden_group_size_y
      - .offset:         88
        .size:           2
        .value_kind:     hidden_group_size_z
      - .offset:         90
        .size:           2
        .value_kind:     hidden_remainder_x
      - .offset:         92
        .size:           2
        .value_kind:     hidden_remainder_y
      - .offset:         94
        .size:           2
        .value_kind:     hidden_remainder_z
      - .offset:         112
        .size:           8
        .value_kind:     hidden_global_offset_x
      - .offset:         120
        .size:           8
        .value_kind:     hidden_global_offset_y
      - .offset:         128
        .size:           8
        .value_kind:     hidden_global_offset_z
      - .offset:         136
        .size:           2
        .value_kind:     hidden_grid_dims
      - .offset:         192
        .size:           4
        .value_kind:     hidden_dynamic_lds_size
    .group_segment_fixed_size: 0
    .kernarg_segment_align: 8
    .kernarg_segment_size: 328
    .language:       OpenCL C
    .language_version:
      - 2
      - 0
    .max_flat_workgroup_size: 1024
    .name:           _ZN9rocsolver6v33100L41conj_nonunit_backward_substitution_kernelI19rocblas_complex_numIdEiPS3_EEvT0_S5_T1_S5_S5_llS6_S5_S5_ll
    .private_segment_fixed_size: 0
    .sgpr_count:     18
    .sgpr_spill_count: 0
    .symbol:         _ZN9rocsolver6v33100L41conj_nonunit_backward_substitution_kernelI19rocblas_complex_numIdEiPS3_EEvT0_S5_T1_S5_S5_llS6_S5_S5_ll.kd
    .uniform_work_group_size: 1
    .uses_dynamic_stack: false
    .vgpr_count:     24
    .vgpr_spill_count: 0
    .wavefront_size: 32
  - .args:
      - .offset:         0
        .size:           4
        .value_kind:     by_value
      - .offset:         4
        .size:           4
        .value_kind:     by_value
      - .address_space:  global
        .offset:         8
        .size:           8
        .value_kind:     global_buffer
      - .offset:         16
        .size:           4
        .value_kind:     by_value
      - .offset:         20
        .size:           4
        .value_kind:     by_value
      - .offset:         24
        .size:           8
        .value_kind:     by_value
      - .offset:         32
        .size:           8
        .value_kind:     by_value
      - .address_space:  global
        .offset:         40
        .size:           8
        .value_kind:     global_buffer
      - .offset:         48
        .size:           4
        .value_kind:     by_value
      - .offset:         52
        .size:           4
        .value_kind:     by_value
      - .offset:         56
        .size:           8
        .value_kind:     by_value
      - .offset:         64
        .size:           8
        .value_kind:     by_value
      - .offset:         72
        .size:           4
        .value_kind:     hidden_block_count_x
      - .offset:         76
        .size:           4
        .value_kind:     hidden_block_count_y
      - .offset:         80
        .size:           4
        .value_kind:     hidden_block_count_z
      - .offset:         84
        .size:           2
        .value_kind:     hidden_group_size_x
      - .offset:         86
        .size:           2
        .value_kind:     hidden_group_size_y
      - .offset:         88
        .size:           2
        .value_kind:     hidden_group_size_z
      - .offset:         90
        .size:           2
        .value_kind:     hidden_remainder_x
      - .offset:         92
        .size:           2
        .value_kind:     hidden_remainder_y
      - .offset:         94
        .size:           2
        .value_kind:     hidden_remainder_z
      - .offset:         112
        .size:           8
        .value_kind:     hidden_global_offset_x
      - .offset:         120
        .size:           8
        .value_kind:     hidden_global_offset_y
      - .offset:         128
        .size:           8
        .value_kind:     hidden_global_offset_z
      - .offset:         136
        .size:           2
        .value_kind:     hidden_grid_dims
      - .offset:         192
        .size:           4
        .value_kind:     hidden_dynamic_lds_size
    .group_segment_fixed_size: 0
    .kernarg_segment_align: 8
    .kernarg_segment_size: 328
    .language:       OpenCL C
    .language_version:
      - 2
      - 0
    .max_flat_workgroup_size: 1024
    .name:           _ZN9rocsolver6v33100L33unit_backward_substitution_kernelI19rocblas_complex_numIdEiPS3_EEvT0_S5_T1_S5_S5_llS6_S5_S5_ll
    .private_segment_fixed_size: 0
    .sgpr_count:     16
    .sgpr_spill_count: 0
    .symbol:         _ZN9rocsolver6v33100L33unit_backward_substitution_kernelI19rocblas_complex_numIdEiPS3_EEvT0_S5_T1_S5_S5_llS6_S5_S5_ll.kd
    .uniform_work_group_size: 1
    .uses_dynamic_stack: false
    .vgpr_count:     22
    .vgpr_spill_count: 0
    .wavefront_size: 32
  - .args:
      - .offset:         0
        .size:           4
        .value_kind:     by_value
      - .offset:         4
        .size:           4
        .value_kind:     by_value
      - .address_space:  global
        .offset:         8
        .size:           8
        .value_kind:     global_buffer
      - .offset:         16
        .size:           4
        .value_kind:     by_value
      - .offset:         20
        .size:           4
        .value_kind:     by_value
      - .offset:         24
        .size:           8
        .value_kind:     by_value
      - .offset:         32
        .size:           8
        .value_kind:     by_value
      - .address_space:  global
        .offset:         40
        .size:           8
        .value_kind:     global_buffer
      - .offset:         48
        .size:           4
        .value_kind:     by_value
      - .offset:         52
        .size:           4
        .value_kind:     by_value
      - .offset:         56
        .size:           8
        .value_kind:     by_value
      - .offset:         64
        .size:           8
        .value_kind:     by_value
      - .offset:         72
        .size:           4
        .value_kind:     hidden_block_count_x
      - .offset:         76
        .size:           4
        .value_kind:     hidden_block_count_y
      - .offset:         80
        .size:           4
        .value_kind:     hidden_block_count_z
      - .offset:         84
        .size:           2
        .value_kind:     hidden_group_size_x
      - .offset:         86
        .size:           2
        .value_kind:     hidden_group_size_y
      - .offset:         88
        .size:           2
        .value_kind:     hidden_group_size_z
      - .offset:         90
        .size:           2
        .value_kind:     hidden_remainder_x
      - .offset:         92
        .size:           2
        .value_kind:     hidden_remainder_y
      - .offset:         94
        .size:           2
        .value_kind:     hidden_remainder_z
      - .offset:         112
        .size:           8
        .value_kind:     hidden_global_offset_x
      - .offset:         120
        .size:           8
        .value_kind:     hidden_global_offset_y
      - .offset:         128
        .size:           8
        .value_kind:     hidden_global_offset_z
      - .offset:         136
        .size:           2
        .value_kind:     hidden_grid_dims
      - .offset:         192
        .size:           4
        .value_kind:     hidden_dynamic_lds_size
    .group_segment_fixed_size: 0
    .kernarg_segment_align: 8
    .kernarg_segment_size: 328
    .language:       OpenCL C
    .language_version:
      - 2
      - 0
    .max_flat_workgroup_size: 1024
    .name:           _ZN9rocsolver6v33100L36nonunit_backward_substitution_kernelI19rocblas_complex_numIdEiPS3_EEvT0_S5_T1_S5_S5_llS6_S5_S5_ll
    .private_segment_fixed_size: 0
    .sgpr_count:     18
    .sgpr_spill_count: 0
    .symbol:         _ZN9rocsolver6v33100L36nonunit_backward_substitution_kernelI19rocblas_complex_numIdEiPS3_EEvT0_S5_T1_S5_S5_llS6_S5_S5_ll.kd
    .uniform_work_group_size: 1
    .uses_dynamic_stack: false
    .vgpr_count:     24
    .vgpr_spill_count: 0
    .wavefront_size: 32
  - .args:
      - .offset:         0
        .size:           4
        .value_kind:     by_value
      - .offset:         4
        .size:           4
        .value_kind:     by_value
      - .address_space:  global
        .offset:         8
        .size:           8
        .value_kind:     global_buffer
      - .offset:         16
        .size:           4
        .value_kind:     by_value
      - .offset:         20
        .size:           4
        .value_kind:     by_value
      - .offset:         24
        .size:           8
        .value_kind:     by_value
      - .offset:         32
        .size:           8
        .value_kind:     by_value
      - .address_space:  global
        .offset:         40
        .size:           8
        .value_kind:     global_buffer
      - .offset:         48
        .size:           4
        .value_kind:     by_value
      - .offset:         52
        .size:           4
        .value_kind:     by_value
      - .offset:         56
        .size:           8
        .value_kind:     by_value
      - .offset:         64
        .size:           8
        .value_kind:     by_value
      - .offset:         72
        .size:           4
        .value_kind:     hidden_block_count_x
      - .offset:         76
        .size:           4
        .value_kind:     hidden_block_count_y
      - .offset:         80
        .size:           4
        .value_kind:     hidden_block_count_z
      - .offset:         84
        .size:           2
        .value_kind:     hidden_group_size_x
      - .offset:         86
        .size:           2
        .value_kind:     hidden_group_size_y
      - .offset:         88
        .size:           2
        .value_kind:     hidden_group_size_z
      - .offset:         90
        .size:           2
        .value_kind:     hidden_remainder_x
      - .offset:         92
        .size:           2
        .value_kind:     hidden_remainder_y
      - .offset:         94
        .size:           2
        .value_kind:     hidden_remainder_z
      - .offset:         112
        .size:           8
        .value_kind:     hidden_global_offset_x
      - .offset:         120
        .size:           8
        .value_kind:     hidden_global_offset_y
      - .offset:         128
        .size:           8
        .value_kind:     hidden_global_offset_z
      - .offset:         136
        .size:           2
        .value_kind:     hidden_grid_dims
      - .offset:         192
        .size:           4
        .value_kind:     hidden_dynamic_lds_size
    .group_segment_fixed_size: 0
    .kernarg_segment_align: 8
    .kernarg_segment_size: 328
    .language:       OpenCL C
    .language_version:
      - 2
      - 0
    .max_flat_workgroup_size: 1024
    .name:           _ZN9rocsolver6v33100L37conj_unit_forward_substitution_kernelI19rocblas_complex_numIdEiPKPS3_EEvT0_S7_T1_S7_S7_llS8_S7_S7_ll
    .private_segment_fixed_size: 0
    .sgpr_count:     12
    .sgpr_spill_count: 0
    .symbol:         _ZN9rocsolver6v33100L37conj_unit_forward_substitution_kernelI19rocblas_complex_numIdEiPKPS3_EEvT0_S7_T1_S7_S7_llS8_S7_S7_ll.kd
    .uniform_work_group_size: 1
    .uses_dynamic_stack: false
    .vgpr_count:     22
    .vgpr_spill_count: 0
    .wavefront_size: 32
  - .args:
      - .offset:         0
        .size:           4
        .value_kind:     by_value
      - .offset:         4
        .size:           4
        .value_kind:     by_value
      - .address_space:  global
        .offset:         8
        .size:           8
        .value_kind:     global_buffer
      - .offset:         16
        .size:           4
        .value_kind:     by_value
      - .offset:         20
        .size:           4
        .value_kind:     by_value
      - .offset:         24
        .size:           8
        .value_kind:     by_value
      - .offset:         32
        .size:           8
        .value_kind:     by_value
      - .address_space:  global
        .offset:         40
        .size:           8
        .value_kind:     global_buffer
      - .offset:         48
        .size:           4
        .value_kind:     by_value
      - .offset:         52
        .size:           4
        .value_kind:     by_value
      - .offset:         56
        .size:           8
        .value_kind:     by_value
      - .offset:         64
        .size:           8
        .value_kind:     by_value
      - .offset:         72
        .size:           4
        .value_kind:     hidden_block_count_x
      - .offset:         76
        .size:           4
        .value_kind:     hidden_block_count_y
      - .offset:         80
        .size:           4
        .value_kind:     hidden_block_count_z
      - .offset:         84
        .size:           2
        .value_kind:     hidden_group_size_x
      - .offset:         86
        .size:           2
        .value_kind:     hidden_group_size_y
      - .offset:         88
        .size:           2
        .value_kind:     hidden_group_size_z
      - .offset:         90
        .size:           2
        .value_kind:     hidden_remainder_x
      - .offset:         92
        .size:           2
        .value_kind:     hidden_remainder_y
      - .offset:         94
        .size:           2
        .value_kind:     hidden_remainder_z
      - .offset:         112
        .size:           8
        .value_kind:     hidden_global_offset_x
      - .offset:         120
        .size:           8
        .value_kind:     hidden_global_offset_y
      - .offset:         128
        .size:           8
        .value_kind:     hidden_global_offset_z
      - .offset:         136
        .size:           2
        .value_kind:     hidden_grid_dims
      - .offset:         192
        .size:           4
        .value_kind:     hidden_dynamic_lds_size
    .group_segment_fixed_size: 0
    .kernarg_segment_align: 8
    .kernarg_segment_size: 328
    .language:       OpenCL C
    .language_version:
      - 2
      - 0
    .max_flat_workgroup_size: 1024
    .name:           _ZN9rocsolver6v33100L40conj_nonunit_forward_substitution_kernelI19rocblas_complex_numIdEiPKPS3_EEvT0_S7_T1_S7_S7_llS8_S7_S7_ll
    .private_segment_fixed_size: 0
    .sgpr_count:     14
    .sgpr_spill_count: 0
    .symbol:         _ZN9rocsolver6v33100L40conj_nonunit_forward_substitution_kernelI19rocblas_complex_numIdEiPKPS3_EEvT0_S7_T1_S7_S7_llS8_S7_S7_ll.kd
    .uniform_work_group_size: 1
    .uses_dynamic_stack: false
    .vgpr_count:     24
    .vgpr_spill_count: 0
    .wavefront_size: 32
  - .args:
      - .offset:         0
        .size:           4
        .value_kind:     by_value
      - .offset:         4
        .size:           4
        .value_kind:     by_value
      - .address_space:  global
        .offset:         8
        .size:           8
        .value_kind:     global_buffer
      - .offset:         16
        .size:           4
        .value_kind:     by_value
      - .offset:         20
        .size:           4
        .value_kind:     by_value
      - .offset:         24
        .size:           8
        .value_kind:     by_value
      - .offset:         32
        .size:           8
        .value_kind:     by_value
      - .address_space:  global
        .offset:         40
        .size:           8
        .value_kind:     global_buffer
      - .offset:         48
        .size:           4
        .value_kind:     by_value
      - .offset:         52
        .size:           4
        .value_kind:     by_value
      - .offset:         56
        .size:           8
        .value_kind:     by_value
      - .offset:         64
        .size:           8
        .value_kind:     by_value
      - .offset:         72
        .size:           4
        .value_kind:     hidden_block_count_x
      - .offset:         76
        .size:           4
        .value_kind:     hidden_block_count_y
      - .offset:         80
        .size:           4
        .value_kind:     hidden_block_count_z
      - .offset:         84
        .size:           2
        .value_kind:     hidden_group_size_x
      - .offset:         86
        .size:           2
        .value_kind:     hidden_group_size_y
      - .offset:         88
        .size:           2
        .value_kind:     hidden_group_size_z
      - .offset:         90
        .size:           2
        .value_kind:     hidden_remainder_x
      - .offset:         92
        .size:           2
        .value_kind:     hidden_remainder_y
      - .offset:         94
        .size:           2
        .value_kind:     hidden_remainder_z
      - .offset:         112
        .size:           8
        .value_kind:     hidden_global_offset_x
      - .offset:         120
        .size:           8
        .value_kind:     hidden_global_offset_y
      - .offset:         128
        .size:           8
        .value_kind:     hidden_global_offset_z
      - .offset:         136
        .size:           2
        .value_kind:     hidden_grid_dims
      - .offset:         192
        .size:           4
        .value_kind:     hidden_dynamic_lds_size
    .group_segment_fixed_size: 0
    .kernarg_segment_align: 8
    .kernarg_segment_size: 328
    .language:       OpenCL C
    .language_version:
      - 2
      - 0
    .max_flat_workgroup_size: 1024
    .name:           _ZN9rocsolver6v33100L32unit_forward_substitution_kernelI19rocblas_complex_numIdEiPKPS3_EEvT0_S7_T1_S7_S7_llS8_S7_S7_ll
    .private_segment_fixed_size: 0
    .sgpr_count:     12
    .sgpr_spill_count: 0
    .symbol:         _ZN9rocsolver6v33100L32unit_forward_substitution_kernelI19rocblas_complex_numIdEiPKPS3_EEvT0_S7_T1_S7_S7_llS8_S7_S7_ll.kd
    .uniform_work_group_size: 1
    .uses_dynamic_stack: false
    .vgpr_count:     22
    .vgpr_spill_count: 0
    .wavefront_size: 32
  - .args:
      - .offset:         0
        .size:           4
        .value_kind:     by_value
      - .offset:         4
        .size:           4
        .value_kind:     by_value
      - .address_space:  global
        .offset:         8
        .size:           8
        .value_kind:     global_buffer
      - .offset:         16
        .size:           4
        .value_kind:     by_value
      - .offset:         20
        .size:           4
        .value_kind:     by_value
      - .offset:         24
        .size:           8
        .value_kind:     by_value
      - .offset:         32
        .size:           8
        .value_kind:     by_value
      - .address_space:  global
        .offset:         40
        .size:           8
        .value_kind:     global_buffer
      - .offset:         48
        .size:           4
        .value_kind:     by_value
      - .offset:         52
        .size:           4
        .value_kind:     by_value
      - .offset:         56
        .size:           8
        .value_kind:     by_value
      - .offset:         64
        .size:           8
        .value_kind:     by_value
      - .offset:         72
        .size:           4
        .value_kind:     hidden_block_count_x
      - .offset:         76
        .size:           4
        .value_kind:     hidden_block_count_y
      - .offset:         80
        .size:           4
        .value_kind:     hidden_block_count_z
      - .offset:         84
        .size:           2
        .value_kind:     hidden_group_size_x
      - .offset:         86
        .size:           2
        .value_kind:     hidden_group_size_y
      - .offset:         88
        .size:           2
        .value_kind:     hidden_group_size_z
      - .offset:         90
        .size:           2
        .value_kind:     hidden_remainder_x
      - .offset:         92
        .size:           2
        .value_kind:     hidden_remainder_y
      - .offset:         94
        .size:           2
        .value_kind:     hidden_remainder_z
      - .offset:         112
        .size:           8
        .value_kind:     hidden_global_offset_x
      - .offset:         120
        .size:           8
        .value_kind:     hidden_global_offset_y
      - .offset:         128
        .size:           8
        .value_kind:     hidden_global_offset_z
      - .offset:         136
        .size:           2
        .value_kind:     hidden_grid_dims
      - .offset:         192
        .size:           4
        .value_kind:     hidden_dynamic_lds_size
    .group_segment_fixed_size: 0
    .kernarg_segment_align: 8
    .kernarg_segment_size: 328
    .language:       OpenCL C
    .language_version:
      - 2
      - 0
    .max_flat_workgroup_size: 1024
    .name:           _ZN9rocsolver6v33100L35nonunit_forward_substitution_kernelI19rocblas_complex_numIdEiPKPS3_EEvT0_S7_T1_S7_S7_llS8_S7_S7_ll
    .private_segment_fixed_size: 0
    .sgpr_count:     14
    .sgpr_spill_count: 0
    .symbol:         _ZN9rocsolver6v33100L35nonunit_forward_substitution_kernelI19rocblas_complex_numIdEiPKPS3_EEvT0_S7_T1_S7_S7_llS8_S7_S7_ll.kd
    .uniform_work_group_size: 1
    .uses_dynamic_stack: false
    .vgpr_count:     24
    .vgpr_spill_count: 0
    .wavefront_size: 32
  - .args:
      - .offset:         0
        .size:           4
        .value_kind:     by_value
      - .offset:         4
        .size:           4
        .value_kind:     by_value
      - .address_space:  global
        .offset:         8
        .size:           8
        .value_kind:     global_buffer
      - .offset:         16
        .size:           4
        .value_kind:     by_value
      - .offset:         20
        .size:           4
        .value_kind:     by_value
      - .offset:         24
        .size:           8
        .value_kind:     by_value
      - .offset:         32
        .size:           8
        .value_kind:     by_value
      - .address_space:  global
        .offset:         40
        .size:           8
        .value_kind:     global_buffer
      - .offset:         48
        .size:           4
        .value_kind:     by_value
      - .offset:         52
        .size:           4
        .value_kind:     by_value
      - .offset:         56
        .size:           8
        .value_kind:     by_value
      - .offset:         64
        .size:           8
        .value_kind:     by_value
      - .offset:         72
        .size:           4
        .value_kind:     hidden_block_count_x
      - .offset:         76
        .size:           4
        .value_kind:     hidden_block_count_y
      - .offset:         80
        .size:           4
        .value_kind:     hidden_block_count_z
      - .offset:         84
        .size:           2
        .value_kind:     hidden_group_size_x
      - .offset:         86
        .size:           2
        .value_kind:     hidden_group_size_y
      - .offset:         88
        .size:           2
        .value_kind:     hidden_group_size_z
      - .offset:         90
        .size:           2
        .value_kind:     hidden_remainder_x
      - .offset:         92
        .size:           2
        .value_kind:     hidden_remainder_y
      - .offset:         94
        .size:           2
        .value_kind:     hidden_remainder_z
      - .offset:         112
        .size:           8
        .value_kind:     hidden_global_offset_x
      - .offset:         120
        .size:           8
        .value_kind:     hidden_global_offset_y
      - .offset:         128
        .size:           8
        .value_kind:     hidden_global_offset_z
      - .offset:         136
        .size:           2
        .value_kind:     hidden_grid_dims
      - .offset:         192
        .size:           4
        .value_kind:     hidden_dynamic_lds_size
    .group_segment_fixed_size: 0
    .kernarg_segment_align: 8
    .kernarg_segment_size: 328
    .language:       OpenCL C
    .language_version:
      - 2
      - 0
    .max_flat_workgroup_size: 1024
    .name:           _ZN9rocsolver6v33100L38conj_unit_backward_substitution_kernelI19rocblas_complex_numIdEiPKPS3_EEvT0_S7_T1_S7_S7_llS8_S7_S7_ll
    .private_segment_fixed_size: 0
    .sgpr_count:     12
    .sgpr_spill_count: 0
    .symbol:         _ZN9rocsolver6v33100L38conj_unit_backward_substitution_kernelI19rocblas_complex_numIdEiPKPS3_EEvT0_S7_T1_S7_S7_llS8_S7_S7_ll.kd
    .uniform_work_group_size: 1
    .uses_dynamic_stack: false
    .vgpr_count:     22
    .vgpr_spill_count: 0
    .wavefront_size: 32
  - .args:
      - .offset:         0
        .size:           4
        .value_kind:     by_value
      - .offset:         4
        .size:           4
        .value_kind:     by_value
      - .address_space:  global
        .offset:         8
        .size:           8
        .value_kind:     global_buffer
      - .offset:         16
        .size:           4
        .value_kind:     by_value
      - .offset:         20
        .size:           4
        .value_kind:     by_value
      - .offset:         24
        .size:           8
        .value_kind:     by_value
      - .offset:         32
        .size:           8
        .value_kind:     by_value
      - .address_space:  global
        .offset:         40
        .size:           8
        .value_kind:     global_buffer
      - .offset:         48
        .size:           4
        .value_kind:     by_value
      - .offset:         52
        .size:           4
        .value_kind:     by_value
      - .offset:         56
        .size:           8
        .value_kind:     by_value
      - .offset:         64
        .size:           8
        .value_kind:     by_value
      - .offset:         72
        .size:           4
        .value_kind:     hidden_block_count_x
      - .offset:         76
        .size:           4
        .value_kind:     hidden_block_count_y
      - .offset:         80
        .size:           4
        .value_kind:     hidden_block_count_z
      - .offset:         84
        .size:           2
        .value_kind:     hidden_group_size_x
      - .offset:         86
        .size:           2
        .value_kind:     hidden_group_size_y
      - .offset:         88
        .size:           2
        .value_kind:     hidden_group_size_z
      - .offset:         90
        .size:           2
        .value_kind:     hidden_remainder_x
      - .offset:         92
        .size:           2
        .value_kind:     hidden_remainder_y
      - .offset:         94
        .size:           2
        .value_kind:     hidden_remainder_z
      - .offset:         112
        .size:           8
        .value_kind:     hidden_global_offset_x
      - .offset:         120
        .size:           8
        .value_kind:     hidden_global_offset_y
      - .offset:         128
        .size:           8
        .value_kind:     hidden_global_offset_z
      - .offset:         136
        .size:           2
        .value_kind:     hidden_grid_dims
      - .offset:         192
        .size:           4
        .value_kind:     hidden_dynamic_lds_size
    .group_segment_fixed_size: 0
    .kernarg_segment_align: 8
    .kernarg_segment_size: 328
    .language:       OpenCL C
    .language_version:
      - 2
      - 0
    .max_flat_workgroup_size: 1024
    .name:           _ZN9rocsolver6v33100L41conj_nonunit_backward_substitution_kernelI19rocblas_complex_numIdEiPKPS3_EEvT0_S7_T1_S7_S7_llS8_S7_S7_ll
    .private_segment_fixed_size: 0
    .sgpr_count:     14
    .sgpr_spill_count: 0
    .symbol:         _ZN9rocsolver6v33100L41conj_nonunit_backward_substitution_kernelI19rocblas_complex_numIdEiPKPS3_EEvT0_S7_T1_S7_S7_llS8_S7_S7_ll.kd
    .uniform_work_group_size: 1
    .uses_dynamic_stack: false
    .vgpr_count:     24
    .vgpr_spill_count: 0
    .wavefront_size: 32
  - .args:
      - .offset:         0
        .size:           4
        .value_kind:     by_value
      - .offset:         4
        .size:           4
        .value_kind:     by_value
      - .address_space:  global
        .offset:         8
        .size:           8
        .value_kind:     global_buffer
      - .offset:         16
        .size:           4
        .value_kind:     by_value
      - .offset:         20
        .size:           4
        .value_kind:     by_value
      - .offset:         24
        .size:           8
        .value_kind:     by_value
      - .offset:         32
        .size:           8
        .value_kind:     by_value
      - .address_space:  global
        .offset:         40
        .size:           8
        .value_kind:     global_buffer
      - .offset:         48
        .size:           4
        .value_kind:     by_value
      - .offset:         52
        .size:           4
        .value_kind:     by_value
      - .offset:         56
        .size:           8
        .value_kind:     by_value
      - .offset:         64
        .size:           8
        .value_kind:     by_value
      - .offset:         72
        .size:           4
        .value_kind:     hidden_block_count_x
      - .offset:         76
        .size:           4
        .value_kind:     hidden_block_count_y
      - .offset:         80
        .size:           4
        .value_kind:     hidden_block_count_z
      - .offset:         84
        .size:           2
        .value_kind:     hidden_group_size_x
      - .offset:         86
        .size:           2
        .value_kind:     hidden_group_size_y
      - .offset:         88
        .size:           2
        .value_kind:     hidden_group_size_z
      - .offset:         90
        .size:           2
        .value_kind:     hidden_remainder_x
      - .offset:         92
        .size:           2
        .value_kind:     hidden_remainder_y
      - .offset:         94
        .size:           2
        .value_kind:     hidden_remainder_z
      - .offset:         112
        .size:           8
        .value_kind:     hidden_global_offset_x
      - .offset:         120
        .size:           8
        .value_kind:     hidden_global_offset_y
      - .offset:         128
        .size:           8
        .value_kind:     hidden_global_offset_z
      - .offset:         136
        .size:           2
        .value_kind:     hidden_grid_dims
      - .offset:         192
        .size:           4
        .value_kind:     hidden_dynamic_lds_size
    .group_segment_fixed_size: 0
    .kernarg_segment_align: 8
    .kernarg_segment_size: 328
    .language:       OpenCL C
    .language_version:
      - 2
      - 0
    .max_flat_workgroup_size: 1024
    .name:           _ZN9rocsolver6v33100L33unit_backward_substitution_kernelI19rocblas_complex_numIdEiPKPS3_EEvT0_S7_T1_S7_S7_llS8_S7_S7_ll
    .private_segment_fixed_size: 0
    .sgpr_count:     12
    .sgpr_spill_count: 0
    .symbol:         _ZN9rocsolver6v33100L33unit_backward_substitution_kernelI19rocblas_complex_numIdEiPKPS3_EEvT0_S7_T1_S7_S7_llS8_S7_S7_ll.kd
    .uniform_work_group_size: 1
    .uses_dynamic_stack: false
    .vgpr_count:     22
    .vgpr_spill_count: 0
    .wavefront_size: 32
  - .args:
      - .offset:         0
        .size:           4
        .value_kind:     by_value
      - .offset:         4
        .size:           4
        .value_kind:     by_value
      - .address_space:  global
        .offset:         8
        .size:           8
        .value_kind:     global_buffer
      - .offset:         16
        .size:           4
        .value_kind:     by_value
      - .offset:         20
        .size:           4
        .value_kind:     by_value
      - .offset:         24
        .size:           8
        .value_kind:     by_value
      - .offset:         32
        .size:           8
        .value_kind:     by_value
      - .address_space:  global
        .offset:         40
        .size:           8
        .value_kind:     global_buffer
      - .offset:         48
        .size:           4
        .value_kind:     by_value
      - .offset:         52
        .size:           4
        .value_kind:     by_value
      - .offset:         56
        .size:           8
        .value_kind:     by_value
      - .offset:         64
        .size:           8
        .value_kind:     by_value
      - .offset:         72
        .size:           4
        .value_kind:     hidden_block_count_x
      - .offset:         76
        .size:           4
        .value_kind:     hidden_block_count_y
      - .offset:         80
        .size:           4
        .value_kind:     hidden_block_count_z
      - .offset:         84
        .size:           2
        .value_kind:     hidden_group_size_x
      - .offset:         86
        .size:           2
        .value_kind:     hidden_group_size_y
      - .offset:         88
        .size:           2
        .value_kind:     hidden_group_size_z
      - .offset:         90
        .size:           2
        .value_kind:     hidden_remainder_x
      - .offset:         92
        .size:           2
        .value_kind:     hidden_remainder_y
      - .offset:         94
        .size:           2
        .value_kind:     hidden_remainder_z
      - .offset:         112
        .size:           8
        .value_kind:     hidden_global_offset_x
      - .offset:         120
        .size:           8
        .value_kind:     hidden_global_offset_y
      - .offset:         128
        .size:           8
        .value_kind:     hidden_global_offset_z
      - .offset:         136
        .size:           2
        .value_kind:     hidden_grid_dims
      - .offset:         192
        .size:           4
        .value_kind:     hidden_dynamic_lds_size
    .group_segment_fixed_size: 0
    .kernarg_segment_align: 8
    .kernarg_segment_size: 328
    .language:       OpenCL C
    .language_version:
      - 2
      - 0
    .max_flat_workgroup_size: 1024
    .name:           _ZN9rocsolver6v33100L36nonunit_backward_substitution_kernelI19rocblas_complex_numIdEiPKPS3_EEvT0_S7_T1_S7_S7_llS8_S7_S7_ll
    .private_segment_fixed_size: 0
    .sgpr_count:     14
    .sgpr_spill_count: 0
    .symbol:         _ZN9rocsolver6v33100L36nonunit_backward_substitution_kernelI19rocblas_complex_numIdEiPKPS3_EEvT0_S7_T1_S7_S7_llS8_S7_S7_ll.kd
    .uniform_work_group_size: 1
    .uses_dynamic_stack: false
    .vgpr_count:     24
    .vgpr_spill_count: 0
    .wavefront_size: 32
  - .args:
      - .offset:         0
        .size:           8
        .value_kind:     by_value
      - .offset:         8
        .size:           8
        .value_kind:     by_value
      - .address_space:  global
        .offset:         16
        .size:           8
        .value_kind:     global_buffer
      - .offset:         24
        .size:           8
        .value_kind:     by_value
      - .offset:         32
        .size:           8
        .value_kind:     by_value
      - .offset:         40
        .size:           8
        .value_kind:     by_value
      - .offset:         48
        .size:           8
        .value_kind:     by_value
      - .address_space:  global
        .offset:         56
        .size:           8
        .value_kind:     global_buffer
      - .offset:         64
        .size:           8
        .value_kind:     by_value
      - .offset:         72
        .size:           8
        .value_kind:     by_value
      - .offset:         80
        .size:           8
        .value_kind:     by_value
      - .offset:         88
        .size:           8
        .value_kind:     by_value
      - .offset:         96
        .size:           4
        .value_kind:     hidden_block_count_x
      - .offset:         100
        .size:           4
        .value_kind:     hidden_block_count_y
      - .offset:         104
        .size:           4
        .value_kind:     hidden_block_count_z
      - .offset:         108
        .size:           2
        .value_kind:     hidden_group_size_x
      - .offset:         110
        .size:           2
        .value_kind:     hidden_group_size_y
      - .offset:         112
        .size:           2
        .value_kind:     hidden_group_size_z
      - .offset:         114
        .size:           2
        .value_kind:     hidden_remainder_x
      - .offset:         116
        .size:           2
        .value_kind:     hidden_remainder_y
      - .offset:         118
        .size:           2
        .value_kind:     hidden_remainder_z
      - .offset:         136
        .size:           8
        .value_kind:     hidden_global_offset_x
      - .offset:         144
        .size:           8
        .value_kind:     hidden_global_offset_y
      - .offset:         152
        .size:           8
        .value_kind:     hidden_global_offset_z
      - .offset:         160
        .size:           2
        .value_kind:     hidden_grid_dims
      - .offset:         216
        .size:           4
        .value_kind:     hidden_dynamic_lds_size
    .group_segment_fixed_size: 0
    .kernarg_segment_align: 8
    .kernarg_segment_size: 352
    .language:       OpenCL C
    .language_version:
      - 2
      - 0
    .max_flat_workgroup_size: 1024
    .name:           _ZN9rocsolver6v33100L37conj_unit_forward_substitution_kernelI19rocblas_complex_numIdElPS3_EEvT0_S5_T1_S5_S5_llS6_S5_S5_ll
    .private_segment_fixed_size: 0
    .sgpr_count:     30
    .sgpr_spill_count: 0
    .symbol:         _ZN9rocsolver6v33100L37conj_unit_forward_substitution_kernelI19rocblas_complex_numIdElPS3_EEvT0_S5_T1_S5_S5_llS6_S5_S5_ll.kd
    .uniform_work_group_size: 1
    .uses_dynamic_stack: false
    .vgpr_count:     24
    .vgpr_spill_count: 0
    .wavefront_size: 32
  - .args:
      - .offset:         0
        .size:           8
        .value_kind:     by_value
      - .offset:         8
        .size:           8
        .value_kind:     by_value
      - .address_space:  global
        .offset:         16
        .size:           8
        .value_kind:     global_buffer
      - .offset:         24
        .size:           8
        .value_kind:     by_value
      - .offset:         32
        .size:           8
        .value_kind:     by_value
      - .offset:         40
        .size:           8
        .value_kind:     by_value
      - .offset:         48
        .size:           8
        .value_kind:     by_value
      - .address_space:  global
        .offset:         56
        .size:           8
        .value_kind:     global_buffer
      - .offset:         64
        .size:           8
        .value_kind:     by_value
      - .offset:         72
        .size:           8
        .value_kind:     by_value
      - .offset:         80
        .size:           8
        .value_kind:     by_value
      - .offset:         88
        .size:           8
        .value_kind:     by_value
      - .offset:         96
        .size:           4
        .value_kind:     hidden_block_count_x
      - .offset:         100
        .size:           4
        .value_kind:     hidden_block_count_y
      - .offset:         104
        .size:           4
        .value_kind:     hidden_block_count_z
      - .offset:         108
        .size:           2
        .value_kind:     hidden_group_size_x
      - .offset:         110
        .size:           2
        .value_kind:     hidden_group_size_y
      - .offset:         112
        .size:           2
        .value_kind:     hidden_group_size_z
      - .offset:         114
        .size:           2
        .value_kind:     hidden_remainder_x
      - .offset:         116
        .size:           2
        .value_kind:     hidden_remainder_y
      - .offset:         118
        .size:           2
        .value_kind:     hidden_remainder_z
      - .offset:         136
        .size:           8
        .value_kind:     hidden_global_offset_x
      - .offset:         144
        .size:           8
        .value_kind:     hidden_global_offset_y
      - .offset:         152
        .size:           8
        .value_kind:     hidden_global_offset_z
      - .offset:         160
        .size:           2
        .value_kind:     hidden_grid_dims
      - .offset:         216
        .size:           4
        .value_kind:     hidden_dynamic_lds_size
    .group_segment_fixed_size: 0
    .kernarg_segment_align: 8
    .kernarg_segment_size: 352
    .language:       OpenCL C
    .language_version:
      - 2
      - 0
    .max_flat_workgroup_size: 1024
    .name:           _ZN9rocsolver6v33100L40conj_nonunit_forward_substitution_kernelI19rocblas_complex_numIdElPS3_EEvT0_S5_T1_S5_S5_llS6_S5_S5_ll
    .private_segment_fixed_size: 0
    .sgpr_count:     30
    .sgpr_spill_count: 0
    .symbol:         _ZN9rocsolver6v33100L40conj_nonunit_forward_substitution_kernelI19rocblas_complex_numIdElPS3_EEvT0_S5_T1_S5_S5_llS6_S5_S5_ll.kd
    .uniform_work_group_size: 1
    .uses_dynamic_stack: false
    .vgpr_count:     28
    .vgpr_spill_count: 0
    .wavefront_size: 32
  - .args:
      - .offset:         0
        .size:           8
        .value_kind:     by_value
      - .offset:         8
        .size:           8
        .value_kind:     by_value
      - .address_space:  global
        .offset:         16
        .size:           8
        .value_kind:     global_buffer
      - .offset:         24
        .size:           8
        .value_kind:     by_value
      - .offset:         32
        .size:           8
        .value_kind:     by_value
      - .offset:         40
        .size:           8
        .value_kind:     by_value
      - .offset:         48
        .size:           8
        .value_kind:     by_value
      - .address_space:  global
        .offset:         56
        .size:           8
        .value_kind:     global_buffer
      - .offset:         64
        .size:           8
        .value_kind:     by_value
      - .offset:         72
        .size:           8
        .value_kind:     by_value
      - .offset:         80
        .size:           8
        .value_kind:     by_value
      - .offset:         88
        .size:           8
        .value_kind:     by_value
      - .offset:         96
        .size:           4
        .value_kind:     hidden_block_count_x
      - .offset:         100
        .size:           4
        .value_kind:     hidden_block_count_y
      - .offset:         104
        .size:           4
        .value_kind:     hidden_block_count_z
      - .offset:         108
        .size:           2
        .value_kind:     hidden_group_size_x
      - .offset:         110
        .size:           2
        .value_kind:     hidden_group_size_y
      - .offset:         112
        .size:           2
        .value_kind:     hidden_group_size_z
      - .offset:         114
        .size:           2
        .value_kind:     hidden_remainder_x
      - .offset:         116
        .size:           2
        .value_kind:     hidden_remainder_y
      - .offset:         118
        .size:           2
        .value_kind:     hidden_remainder_z
      - .offset:         136
        .size:           8
        .value_kind:     hidden_global_offset_x
      - .offset:         144
        .size:           8
        .value_kind:     hidden_global_offset_y
      - .offset:         152
        .size:           8
        .value_kind:     hidden_global_offset_z
      - .offset:         160
        .size:           2
        .value_kind:     hidden_grid_dims
      - .offset:         216
        .size:           4
        .value_kind:     hidden_dynamic_lds_size
    .group_segment_fixed_size: 0
    .kernarg_segment_align: 8
    .kernarg_segment_size: 352
    .language:       OpenCL C
    .language_version:
      - 2
      - 0
    .max_flat_workgroup_size: 1024
    .name:           _ZN9rocsolver6v33100L32unit_forward_substitution_kernelI19rocblas_complex_numIdElPS3_EEvT0_S5_T1_S5_S5_llS6_S5_S5_ll
    .private_segment_fixed_size: 0
    .sgpr_count:     30
    .sgpr_spill_count: 0
    .symbol:         _ZN9rocsolver6v33100L32unit_forward_substitution_kernelI19rocblas_complex_numIdElPS3_EEvT0_S5_T1_S5_S5_llS6_S5_S5_ll.kd
    .uniform_work_group_size: 1
    .uses_dynamic_stack: false
    .vgpr_count:     24
    .vgpr_spill_count: 0
    .wavefront_size: 32
  - .args:
      - .offset:         0
        .size:           8
        .value_kind:     by_value
      - .offset:         8
        .size:           8
        .value_kind:     by_value
      - .address_space:  global
        .offset:         16
        .size:           8
        .value_kind:     global_buffer
      - .offset:         24
        .size:           8
        .value_kind:     by_value
      - .offset:         32
        .size:           8
        .value_kind:     by_value
      - .offset:         40
        .size:           8
        .value_kind:     by_value
      - .offset:         48
        .size:           8
        .value_kind:     by_value
      - .address_space:  global
        .offset:         56
        .size:           8
        .value_kind:     global_buffer
      - .offset:         64
        .size:           8
        .value_kind:     by_value
      - .offset:         72
        .size:           8
        .value_kind:     by_value
      - .offset:         80
        .size:           8
        .value_kind:     by_value
      - .offset:         88
        .size:           8
        .value_kind:     by_value
      - .offset:         96
        .size:           4
        .value_kind:     hidden_block_count_x
      - .offset:         100
        .size:           4
        .value_kind:     hidden_block_count_y
      - .offset:         104
        .size:           4
        .value_kind:     hidden_block_count_z
      - .offset:         108
        .size:           2
        .value_kind:     hidden_group_size_x
      - .offset:         110
        .size:           2
        .value_kind:     hidden_group_size_y
      - .offset:         112
        .size:           2
        .value_kind:     hidden_group_size_z
      - .offset:         114
        .size:           2
        .value_kind:     hidden_remainder_x
      - .offset:         116
        .size:           2
        .value_kind:     hidden_remainder_y
      - .offset:         118
        .size:           2
        .value_kind:     hidden_remainder_z
      - .offset:         136
        .size:           8
        .value_kind:     hidden_global_offset_x
      - .offset:         144
        .size:           8
        .value_kind:     hidden_global_offset_y
      - .offset:         152
        .size:           8
        .value_kind:     hidden_global_offset_z
      - .offset:         160
        .size:           2
        .value_kind:     hidden_grid_dims
      - .offset:         216
        .size:           4
        .value_kind:     hidden_dynamic_lds_size
    .group_segment_fixed_size: 0
    .kernarg_segment_align: 8
    .kernarg_segment_size: 352
    .language:       OpenCL C
    .language_version:
      - 2
      - 0
    .max_flat_workgroup_size: 1024
    .name:           _ZN9rocsolver6v33100L35nonunit_forward_substitution_kernelI19rocblas_complex_numIdElPS3_EEvT0_S5_T1_S5_S5_llS6_S5_S5_ll
    .private_segment_fixed_size: 0
    .sgpr_count:     30
    .sgpr_spill_count: 0
    .symbol:         _ZN9rocsolver6v33100L35nonunit_forward_substitution_kernelI19rocblas_complex_numIdElPS3_EEvT0_S5_T1_S5_S5_llS6_S5_S5_ll.kd
    .uniform_work_group_size: 1
    .uses_dynamic_stack: false
    .vgpr_count:     28
    .vgpr_spill_count: 0
    .wavefront_size: 32
  - .args:
      - .offset:         0
        .size:           8
        .value_kind:     by_value
      - .offset:         8
        .size:           8
        .value_kind:     by_value
      - .address_space:  global
        .offset:         16
        .size:           8
        .value_kind:     global_buffer
      - .offset:         24
        .size:           8
        .value_kind:     by_value
      - .offset:         32
        .size:           8
        .value_kind:     by_value
      - .offset:         40
        .size:           8
        .value_kind:     by_value
      - .offset:         48
        .size:           8
        .value_kind:     by_value
      - .address_space:  global
        .offset:         56
        .size:           8
        .value_kind:     global_buffer
      - .offset:         64
        .size:           8
        .value_kind:     by_value
      - .offset:         72
        .size:           8
        .value_kind:     by_value
      - .offset:         80
        .size:           8
        .value_kind:     by_value
      - .offset:         88
        .size:           8
        .value_kind:     by_value
      - .offset:         96
        .size:           4
        .value_kind:     hidden_block_count_x
      - .offset:         100
        .size:           4
        .value_kind:     hidden_block_count_y
      - .offset:         104
        .size:           4
        .value_kind:     hidden_block_count_z
      - .offset:         108
        .size:           2
        .value_kind:     hidden_group_size_x
      - .offset:         110
        .size:           2
        .value_kind:     hidden_group_size_y
      - .offset:         112
        .size:           2
        .value_kind:     hidden_group_size_z
      - .offset:         114
        .size:           2
        .value_kind:     hidden_remainder_x
      - .offset:         116
        .size:           2
        .value_kind:     hidden_remainder_y
      - .offset:         118
        .size:           2
        .value_kind:     hidden_remainder_z
      - .offset:         136
        .size:           8
        .value_kind:     hidden_global_offset_x
      - .offset:         144
        .size:           8
        .value_kind:     hidden_global_offset_y
      - .offset:         152
        .size:           8
        .value_kind:     hidden_global_offset_z
      - .offset:         160
        .size:           2
        .value_kind:     hidden_grid_dims
      - .offset:         216
        .size:           4
        .value_kind:     hidden_dynamic_lds_size
    .group_segment_fixed_size: 0
    .kernarg_segment_align: 8
    .kernarg_segment_size: 352
    .language:       OpenCL C
    .language_version:
      - 2
      - 0
    .max_flat_workgroup_size: 1024
    .name:           _ZN9rocsolver6v33100L38conj_unit_backward_substitution_kernelI19rocblas_complex_numIdElPS3_EEvT0_S5_T1_S5_S5_llS6_S5_S5_ll
    .private_segment_fixed_size: 0
    .sgpr_count:     30
    .sgpr_spill_count: 0
    .symbol:         _ZN9rocsolver6v33100L38conj_unit_backward_substitution_kernelI19rocblas_complex_numIdElPS3_EEvT0_S5_T1_S5_S5_llS6_S5_S5_ll.kd
    .uniform_work_group_size: 1
    .uses_dynamic_stack: false
    .vgpr_count:     24
    .vgpr_spill_count: 0
    .wavefront_size: 32
  - .args:
      - .offset:         0
        .size:           8
        .value_kind:     by_value
      - .offset:         8
        .size:           8
        .value_kind:     by_value
      - .address_space:  global
        .offset:         16
        .size:           8
        .value_kind:     global_buffer
      - .offset:         24
        .size:           8
        .value_kind:     by_value
      - .offset:         32
        .size:           8
        .value_kind:     by_value
      - .offset:         40
        .size:           8
        .value_kind:     by_value
      - .offset:         48
        .size:           8
        .value_kind:     by_value
      - .address_space:  global
        .offset:         56
        .size:           8
        .value_kind:     global_buffer
      - .offset:         64
        .size:           8
        .value_kind:     by_value
      - .offset:         72
        .size:           8
        .value_kind:     by_value
      - .offset:         80
        .size:           8
        .value_kind:     by_value
      - .offset:         88
        .size:           8
        .value_kind:     by_value
      - .offset:         96
        .size:           4
        .value_kind:     hidden_block_count_x
      - .offset:         100
        .size:           4
        .value_kind:     hidden_block_count_y
      - .offset:         104
        .size:           4
        .value_kind:     hidden_block_count_z
      - .offset:         108
        .size:           2
        .value_kind:     hidden_group_size_x
      - .offset:         110
        .size:           2
        .value_kind:     hidden_group_size_y
      - .offset:         112
        .size:           2
        .value_kind:     hidden_group_size_z
      - .offset:         114
        .size:           2
        .value_kind:     hidden_remainder_x
      - .offset:         116
        .size:           2
        .value_kind:     hidden_remainder_y
      - .offset:         118
        .size:           2
        .value_kind:     hidden_remainder_z
      - .offset:         136
        .size:           8
        .value_kind:     hidden_global_offset_x
      - .offset:         144
        .size:           8
        .value_kind:     hidden_global_offset_y
      - .offset:         152
        .size:           8
        .value_kind:     hidden_global_offset_z
      - .offset:         160
        .size:           2
        .value_kind:     hidden_grid_dims
      - .offset:         216
        .size:           4
        .value_kind:     hidden_dynamic_lds_size
    .group_segment_fixed_size: 0
    .kernarg_segment_align: 8
    .kernarg_segment_size: 352
    .language:       OpenCL C
    .language_version:
      - 2
      - 0
    .max_flat_workgroup_size: 1024
    .name:           _ZN9rocsolver6v33100L41conj_nonunit_backward_substitution_kernelI19rocblas_complex_numIdElPS3_EEvT0_S5_T1_S5_S5_llS6_S5_S5_ll
    .private_segment_fixed_size: 0
    .sgpr_count:     30
    .sgpr_spill_count: 0
    .symbol:         _ZN9rocsolver6v33100L41conj_nonunit_backward_substitution_kernelI19rocblas_complex_numIdElPS3_EEvT0_S5_T1_S5_S5_llS6_S5_S5_ll.kd
    .uniform_work_group_size: 1
    .uses_dynamic_stack: false
    .vgpr_count:     26
    .vgpr_spill_count: 0
    .wavefront_size: 32
  - .args:
      - .offset:         0
        .size:           8
        .value_kind:     by_value
      - .offset:         8
        .size:           8
        .value_kind:     by_value
      - .address_space:  global
        .offset:         16
        .size:           8
        .value_kind:     global_buffer
      - .offset:         24
        .size:           8
        .value_kind:     by_value
      - .offset:         32
        .size:           8
        .value_kind:     by_value
      - .offset:         40
        .size:           8
        .value_kind:     by_value
      - .offset:         48
        .size:           8
        .value_kind:     by_value
      - .address_space:  global
        .offset:         56
        .size:           8
        .value_kind:     global_buffer
      - .offset:         64
        .size:           8
        .value_kind:     by_value
      - .offset:         72
        .size:           8
        .value_kind:     by_value
      - .offset:         80
        .size:           8
        .value_kind:     by_value
      - .offset:         88
        .size:           8
        .value_kind:     by_value
      - .offset:         96
        .size:           4
        .value_kind:     hidden_block_count_x
      - .offset:         100
        .size:           4
        .value_kind:     hidden_block_count_y
      - .offset:         104
        .size:           4
        .value_kind:     hidden_block_count_z
      - .offset:         108
        .size:           2
        .value_kind:     hidden_group_size_x
      - .offset:         110
        .size:           2
        .value_kind:     hidden_group_size_y
      - .offset:         112
        .size:           2
        .value_kind:     hidden_group_size_z
      - .offset:         114
        .size:           2
        .value_kind:     hidden_remainder_x
      - .offset:         116
        .size:           2
        .value_kind:     hidden_remainder_y
      - .offset:         118
        .size:           2
        .value_kind:     hidden_remainder_z
      - .offset:         136
        .size:           8
        .value_kind:     hidden_global_offset_x
      - .offset:         144
        .size:           8
        .value_kind:     hidden_global_offset_y
      - .offset:         152
        .size:           8
        .value_kind:     hidden_global_offset_z
      - .offset:         160
        .size:           2
        .value_kind:     hidden_grid_dims
      - .offset:         216
        .size:           4
        .value_kind:     hidden_dynamic_lds_size
    .group_segment_fixed_size: 0
    .kernarg_segment_align: 8
    .kernarg_segment_size: 352
    .language:       OpenCL C
    .language_version:
      - 2
      - 0
    .max_flat_workgroup_size: 1024
    .name:           _ZN9rocsolver6v33100L33unit_backward_substitution_kernelI19rocblas_complex_numIdElPS3_EEvT0_S5_T1_S5_S5_llS6_S5_S5_ll
    .private_segment_fixed_size: 0
    .sgpr_count:     30
    .sgpr_spill_count: 0
    .symbol:         _ZN9rocsolver6v33100L33unit_backward_substitution_kernelI19rocblas_complex_numIdElPS3_EEvT0_S5_T1_S5_S5_llS6_S5_S5_ll.kd
    .uniform_work_group_size: 1
    .uses_dynamic_stack: false
    .vgpr_count:     24
    .vgpr_spill_count: 0
    .wavefront_size: 32
  - .args:
      - .offset:         0
        .size:           8
        .value_kind:     by_value
      - .offset:         8
        .size:           8
        .value_kind:     by_value
      - .address_space:  global
        .offset:         16
        .size:           8
        .value_kind:     global_buffer
      - .offset:         24
        .size:           8
        .value_kind:     by_value
      - .offset:         32
        .size:           8
        .value_kind:     by_value
      - .offset:         40
        .size:           8
        .value_kind:     by_value
      - .offset:         48
        .size:           8
        .value_kind:     by_value
      - .address_space:  global
        .offset:         56
        .size:           8
        .value_kind:     global_buffer
      - .offset:         64
        .size:           8
        .value_kind:     by_value
      - .offset:         72
        .size:           8
        .value_kind:     by_value
      - .offset:         80
        .size:           8
        .value_kind:     by_value
      - .offset:         88
        .size:           8
        .value_kind:     by_value
      - .offset:         96
        .size:           4
        .value_kind:     hidden_block_count_x
      - .offset:         100
        .size:           4
        .value_kind:     hidden_block_count_y
      - .offset:         104
        .size:           4
        .value_kind:     hidden_block_count_z
      - .offset:         108
        .size:           2
        .value_kind:     hidden_group_size_x
      - .offset:         110
        .size:           2
        .value_kind:     hidden_group_size_y
      - .offset:         112
        .size:           2
        .value_kind:     hidden_group_size_z
      - .offset:         114
        .size:           2
        .value_kind:     hidden_remainder_x
      - .offset:         116
        .size:           2
        .value_kind:     hidden_remainder_y
      - .offset:         118
        .size:           2
        .value_kind:     hidden_remainder_z
      - .offset:         136
        .size:           8
        .value_kind:     hidden_global_offset_x
      - .offset:         144
        .size:           8
        .value_kind:     hidden_global_offset_y
      - .offset:         152
        .size:           8
        .value_kind:     hidden_global_offset_z
      - .offset:         160
        .size:           2
        .value_kind:     hidden_grid_dims
      - .offset:         216
        .size:           4
        .value_kind:     hidden_dynamic_lds_size
    .group_segment_fixed_size: 0
    .kernarg_segment_align: 8
    .kernarg_segment_size: 352
    .language:       OpenCL C
    .language_version:
      - 2
      - 0
    .max_flat_workgroup_size: 1024
    .name:           _ZN9rocsolver6v33100L36nonunit_backward_substitution_kernelI19rocblas_complex_numIdElPS3_EEvT0_S5_T1_S5_S5_llS6_S5_S5_ll
    .private_segment_fixed_size: 0
    .sgpr_count:     30
    .sgpr_spill_count: 0
    .symbol:         _ZN9rocsolver6v33100L36nonunit_backward_substitution_kernelI19rocblas_complex_numIdElPS3_EEvT0_S5_T1_S5_S5_llS6_S5_S5_ll.kd
    .uniform_work_group_size: 1
    .uses_dynamic_stack: false
    .vgpr_count:     26
    .vgpr_spill_count: 0
    .wavefront_size: 32
  - .args:
      - .offset:         0
        .size:           8
        .value_kind:     by_value
      - .offset:         8
        .size:           8
        .value_kind:     by_value
      - .address_space:  global
        .offset:         16
        .size:           8
        .value_kind:     global_buffer
      - .offset:         24
        .size:           8
        .value_kind:     by_value
      - .offset:         32
        .size:           8
        .value_kind:     by_value
      - .offset:         40
        .size:           8
        .value_kind:     by_value
      - .offset:         48
        .size:           8
        .value_kind:     by_value
      - .address_space:  global
        .offset:         56
        .size:           8
        .value_kind:     global_buffer
      - .offset:         64
        .size:           8
        .value_kind:     by_value
      - .offset:         72
        .size:           8
        .value_kind:     by_value
      - .offset:         80
        .size:           8
        .value_kind:     by_value
      - .offset:         88
        .size:           8
        .value_kind:     by_value
      - .offset:         96
        .size:           4
        .value_kind:     hidden_block_count_x
      - .offset:         100
        .size:           4
        .value_kind:     hidden_block_count_y
      - .offset:         104
        .size:           4
        .value_kind:     hidden_block_count_z
      - .offset:         108
        .size:           2
        .value_kind:     hidden_group_size_x
      - .offset:         110
        .size:           2
        .value_kind:     hidden_group_size_y
      - .offset:         112
        .size:           2
        .value_kind:     hidden_group_size_z
      - .offset:         114
        .size:           2
        .value_kind:     hidden_remainder_x
      - .offset:         116
        .size:           2
        .value_kind:     hidden_remainder_y
      - .offset:         118
        .size:           2
        .value_kind:     hidden_remainder_z
      - .offset:         136
        .size:           8
        .value_kind:     hidden_global_offset_x
      - .offset:         144
        .size:           8
        .value_kind:     hidden_global_offset_y
      - .offset:         152
        .size:           8
        .value_kind:     hidden_global_offset_z
      - .offset:         160
        .size:           2
        .value_kind:     hidden_grid_dims
      - .offset:         216
        .size:           4
        .value_kind:     hidden_dynamic_lds_size
    .group_segment_fixed_size: 0
    .kernarg_segment_align: 8
    .kernarg_segment_size: 352
    .language:       OpenCL C
    .language_version:
      - 2
      - 0
    .max_flat_workgroup_size: 1024
    .name:           _ZN9rocsolver6v33100L37conj_unit_forward_substitution_kernelI19rocblas_complex_numIdElPKPS3_EEvT0_S7_T1_S7_S7_llS8_S7_S7_ll
    .private_segment_fixed_size: 0
    .sgpr_count:     22
    .sgpr_spill_count: 0
    .symbol:         _ZN9rocsolver6v33100L37conj_unit_forward_substitution_kernelI19rocblas_complex_numIdElPKPS3_EEvT0_S7_T1_S7_S7_llS8_S7_S7_ll.kd
    .uniform_work_group_size: 1
    .uses_dynamic_stack: false
    .vgpr_count:     24
    .vgpr_spill_count: 0
    .wavefront_size: 32
  - .args:
      - .offset:         0
        .size:           8
        .value_kind:     by_value
      - .offset:         8
        .size:           8
        .value_kind:     by_value
      - .address_space:  global
        .offset:         16
        .size:           8
        .value_kind:     global_buffer
      - .offset:         24
        .size:           8
        .value_kind:     by_value
      - .offset:         32
        .size:           8
        .value_kind:     by_value
      - .offset:         40
        .size:           8
        .value_kind:     by_value
      - .offset:         48
        .size:           8
        .value_kind:     by_value
      - .address_space:  global
        .offset:         56
        .size:           8
        .value_kind:     global_buffer
      - .offset:         64
        .size:           8
        .value_kind:     by_value
      - .offset:         72
        .size:           8
        .value_kind:     by_value
      - .offset:         80
        .size:           8
        .value_kind:     by_value
      - .offset:         88
        .size:           8
        .value_kind:     by_value
      - .offset:         96
        .size:           4
        .value_kind:     hidden_block_count_x
      - .offset:         100
        .size:           4
        .value_kind:     hidden_block_count_y
      - .offset:         104
        .size:           4
        .value_kind:     hidden_block_count_z
      - .offset:         108
        .size:           2
        .value_kind:     hidden_group_size_x
      - .offset:         110
        .size:           2
        .value_kind:     hidden_group_size_y
      - .offset:         112
        .size:           2
        .value_kind:     hidden_group_size_z
      - .offset:         114
        .size:           2
        .value_kind:     hidden_remainder_x
      - .offset:         116
        .size:           2
        .value_kind:     hidden_remainder_y
      - .offset:         118
        .size:           2
        .value_kind:     hidden_remainder_z
      - .offset:         136
        .size:           8
        .value_kind:     hidden_global_offset_x
      - .offset:         144
        .size:           8
        .value_kind:     hidden_global_offset_y
      - .offset:         152
        .size:           8
        .value_kind:     hidden_global_offset_z
      - .offset:         160
        .size:           2
        .value_kind:     hidden_grid_dims
      - .offset:         216
        .size:           4
        .value_kind:     hidden_dynamic_lds_size
    .group_segment_fixed_size: 0
    .kernarg_segment_align: 8
    .kernarg_segment_size: 352
    .language:       OpenCL C
    .language_version:
      - 2
      - 0
    .max_flat_workgroup_size: 1024
    .name:           _ZN9rocsolver6v33100L40conj_nonunit_forward_substitution_kernelI19rocblas_complex_numIdElPKPS3_EEvT0_S7_T1_S7_S7_llS8_S7_S7_ll
    .private_segment_fixed_size: 0
    .sgpr_count:     22
    .sgpr_spill_count: 0
    .symbol:         _ZN9rocsolver6v33100L40conj_nonunit_forward_substitution_kernelI19rocblas_complex_numIdElPKPS3_EEvT0_S7_T1_S7_S7_llS8_S7_S7_ll.kd
    .uniform_work_group_size: 1
    .uses_dynamic_stack: false
    .vgpr_count:     28
    .vgpr_spill_count: 0
    .wavefront_size: 32
  - .args:
      - .offset:         0
        .size:           8
        .value_kind:     by_value
      - .offset:         8
        .size:           8
        .value_kind:     by_value
      - .address_space:  global
        .offset:         16
        .size:           8
        .value_kind:     global_buffer
      - .offset:         24
        .size:           8
        .value_kind:     by_value
      - .offset:         32
        .size:           8
        .value_kind:     by_value
      - .offset:         40
        .size:           8
        .value_kind:     by_value
      - .offset:         48
        .size:           8
        .value_kind:     by_value
      - .address_space:  global
        .offset:         56
        .size:           8
        .value_kind:     global_buffer
      - .offset:         64
        .size:           8
        .value_kind:     by_value
      - .offset:         72
        .size:           8
        .value_kind:     by_value
      - .offset:         80
        .size:           8
        .value_kind:     by_value
      - .offset:         88
        .size:           8
        .value_kind:     by_value
      - .offset:         96
        .size:           4
        .value_kind:     hidden_block_count_x
      - .offset:         100
        .size:           4
        .value_kind:     hidden_block_count_y
      - .offset:         104
        .size:           4
        .value_kind:     hidden_block_count_z
      - .offset:         108
        .size:           2
        .value_kind:     hidden_group_size_x
      - .offset:         110
        .size:           2
        .value_kind:     hidden_group_size_y
      - .offset:         112
        .size:           2
        .value_kind:     hidden_group_size_z
      - .offset:         114
        .size:           2
        .value_kind:     hidden_remainder_x
      - .offset:         116
        .size:           2
        .value_kind:     hidden_remainder_y
      - .offset:         118
        .size:           2
        .value_kind:     hidden_remainder_z
      - .offset:         136
        .size:           8
        .value_kind:     hidden_global_offset_x
      - .offset:         144
        .size:           8
        .value_kind:     hidden_global_offset_y
      - .offset:         152
        .size:           8
        .value_kind:     hidden_global_offset_z
      - .offset:         160
        .size:           2
        .value_kind:     hidden_grid_dims
      - .offset:         216
        .size:           4
        .value_kind:     hidden_dynamic_lds_size
    .group_segment_fixed_size: 0
    .kernarg_segment_align: 8
    .kernarg_segment_size: 352
    .language:       OpenCL C
    .language_version:
      - 2
      - 0
    .max_flat_workgroup_size: 1024
    .name:           _ZN9rocsolver6v33100L32unit_forward_substitution_kernelI19rocblas_complex_numIdElPKPS3_EEvT0_S7_T1_S7_S7_llS8_S7_S7_ll
    .private_segment_fixed_size: 0
    .sgpr_count:     22
    .sgpr_spill_count: 0
    .symbol:         _ZN9rocsolver6v33100L32unit_forward_substitution_kernelI19rocblas_complex_numIdElPKPS3_EEvT0_S7_T1_S7_S7_llS8_S7_S7_ll.kd
    .uniform_work_group_size: 1
    .uses_dynamic_stack: false
    .vgpr_count:     24
    .vgpr_spill_count: 0
    .wavefront_size: 32
  - .args:
      - .offset:         0
        .size:           8
        .value_kind:     by_value
      - .offset:         8
        .size:           8
        .value_kind:     by_value
      - .address_space:  global
        .offset:         16
        .size:           8
        .value_kind:     global_buffer
      - .offset:         24
        .size:           8
        .value_kind:     by_value
      - .offset:         32
        .size:           8
        .value_kind:     by_value
      - .offset:         40
        .size:           8
        .value_kind:     by_value
      - .offset:         48
        .size:           8
        .value_kind:     by_value
      - .address_space:  global
        .offset:         56
        .size:           8
        .value_kind:     global_buffer
      - .offset:         64
        .size:           8
        .value_kind:     by_value
      - .offset:         72
        .size:           8
        .value_kind:     by_value
      - .offset:         80
        .size:           8
        .value_kind:     by_value
      - .offset:         88
        .size:           8
        .value_kind:     by_value
      - .offset:         96
        .size:           4
        .value_kind:     hidden_block_count_x
      - .offset:         100
        .size:           4
        .value_kind:     hidden_block_count_y
      - .offset:         104
        .size:           4
        .value_kind:     hidden_block_count_z
      - .offset:         108
        .size:           2
        .value_kind:     hidden_group_size_x
      - .offset:         110
        .size:           2
        .value_kind:     hidden_group_size_y
      - .offset:         112
        .size:           2
        .value_kind:     hidden_group_size_z
      - .offset:         114
        .size:           2
        .value_kind:     hidden_remainder_x
      - .offset:         116
        .size:           2
        .value_kind:     hidden_remainder_y
      - .offset:         118
        .size:           2
        .value_kind:     hidden_remainder_z
      - .offset:         136
        .size:           8
        .value_kind:     hidden_global_offset_x
      - .offset:         144
        .size:           8
        .value_kind:     hidden_global_offset_y
      - .offset:         152
        .size:           8
        .value_kind:     hidden_global_offset_z
      - .offset:         160
        .size:           2
        .value_kind:     hidden_grid_dims
      - .offset:         216
        .size:           4
        .value_kind:     hidden_dynamic_lds_size
    .group_segment_fixed_size: 0
    .kernarg_segment_align: 8
    .kernarg_segment_size: 352
    .language:       OpenCL C
    .language_version:
      - 2
      - 0
    .max_flat_workgroup_size: 1024
    .name:           _ZN9rocsolver6v33100L35nonunit_forward_substitution_kernelI19rocblas_complex_numIdElPKPS3_EEvT0_S7_T1_S7_S7_llS8_S7_S7_ll
    .private_segment_fixed_size: 0
    .sgpr_count:     22
    .sgpr_spill_count: 0
    .symbol:         _ZN9rocsolver6v33100L35nonunit_forward_substitution_kernelI19rocblas_complex_numIdElPKPS3_EEvT0_S7_T1_S7_S7_llS8_S7_S7_ll.kd
    .uniform_work_group_size: 1
    .uses_dynamic_stack: false
    .vgpr_count:     28
    .vgpr_spill_count: 0
    .wavefront_size: 32
  - .args:
      - .offset:         0
        .size:           8
        .value_kind:     by_value
      - .offset:         8
        .size:           8
        .value_kind:     by_value
      - .address_space:  global
        .offset:         16
        .size:           8
        .value_kind:     global_buffer
      - .offset:         24
        .size:           8
        .value_kind:     by_value
      - .offset:         32
        .size:           8
        .value_kind:     by_value
      - .offset:         40
        .size:           8
        .value_kind:     by_value
      - .offset:         48
        .size:           8
        .value_kind:     by_value
      - .address_space:  global
        .offset:         56
        .size:           8
        .value_kind:     global_buffer
      - .offset:         64
        .size:           8
        .value_kind:     by_value
      - .offset:         72
        .size:           8
        .value_kind:     by_value
      - .offset:         80
        .size:           8
        .value_kind:     by_value
      - .offset:         88
        .size:           8
        .value_kind:     by_value
      - .offset:         96
        .size:           4
        .value_kind:     hidden_block_count_x
      - .offset:         100
        .size:           4
        .value_kind:     hidden_block_count_y
      - .offset:         104
        .size:           4
        .value_kind:     hidden_block_count_z
      - .offset:         108
        .size:           2
        .value_kind:     hidden_group_size_x
      - .offset:         110
        .size:           2
        .value_kind:     hidden_group_size_y
      - .offset:         112
        .size:           2
        .value_kind:     hidden_group_size_z
      - .offset:         114
        .size:           2
        .value_kind:     hidden_remainder_x
      - .offset:         116
        .size:           2
        .value_kind:     hidden_remainder_y
      - .offset:         118
        .size:           2
        .value_kind:     hidden_remainder_z
      - .offset:         136
        .size:           8
        .value_kind:     hidden_global_offset_x
      - .offset:         144
        .size:           8
        .value_kind:     hidden_global_offset_y
      - .offset:         152
        .size:           8
        .value_kind:     hidden_global_offset_z
      - .offset:         160
        .size:           2
        .value_kind:     hidden_grid_dims
      - .offset:         216
        .size:           4
        .value_kind:     hidden_dynamic_lds_size
    .group_segment_fixed_size: 0
    .kernarg_segment_align: 8
    .kernarg_segment_size: 352
    .language:       OpenCL C
    .language_version:
      - 2
      - 0
    .max_flat_workgroup_size: 1024
    .name:           _ZN9rocsolver6v33100L38conj_unit_backward_substitution_kernelI19rocblas_complex_numIdElPKPS3_EEvT0_S7_T1_S7_S7_llS8_S7_S7_ll
    .private_segment_fixed_size: 0
    .sgpr_count:     22
    .sgpr_spill_count: 0
    .symbol:         _ZN9rocsolver6v33100L38conj_unit_backward_substitution_kernelI19rocblas_complex_numIdElPKPS3_EEvT0_S7_T1_S7_S7_llS8_S7_S7_ll.kd
    .uniform_work_group_size: 1
    .uses_dynamic_stack: false
    .vgpr_count:     24
    .vgpr_spill_count: 0
    .wavefront_size: 32
  - .args:
      - .offset:         0
        .size:           8
        .value_kind:     by_value
      - .offset:         8
        .size:           8
        .value_kind:     by_value
      - .address_space:  global
        .offset:         16
        .size:           8
        .value_kind:     global_buffer
      - .offset:         24
        .size:           8
        .value_kind:     by_value
      - .offset:         32
        .size:           8
        .value_kind:     by_value
      - .offset:         40
        .size:           8
        .value_kind:     by_value
      - .offset:         48
        .size:           8
        .value_kind:     by_value
      - .address_space:  global
        .offset:         56
        .size:           8
        .value_kind:     global_buffer
      - .offset:         64
        .size:           8
        .value_kind:     by_value
      - .offset:         72
        .size:           8
        .value_kind:     by_value
      - .offset:         80
        .size:           8
        .value_kind:     by_value
      - .offset:         88
        .size:           8
        .value_kind:     by_value
      - .offset:         96
        .size:           4
        .value_kind:     hidden_block_count_x
      - .offset:         100
        .size:           4
        .value_kind:     hidden_block_count_y
      - .offset:         104
        .size:           4
        .value_kind:     hidden_block_count_z
      - .offset:         108
        .size:           2
        .value_kind:     hidden_group_size_x
      - .offset:         110
        .size:           2
        .value_kind:     hidden_group_size_y
      - .offset:         112
        .size:           2
        .value_kind:     hidden_group_size_z
      - .offset:         114
        .size:           2
        .value_kind:     hidden_remainder_x
      - .offset:         116
        .size:           2
        .value_kind:     hidden_remainder_y
      - .offset:         118
        .size:           2
        .value_kind:     hidden_remainder_z
      - .offset:         136
        .size:           8
        .value_kind:     hidden_global_offset_x
      - .offset:         144
        .size:           8
        .value_kind:     hidden_global_offset_y
      - .offset:         152
        .size:           8
        .value_kind:     hidden_global_offset_z
      - .offset:         160
        .size:           2
        .value_kind:     hidden_grid_dims
      - .offset:         216
        .size:           4
        .value_kind:     hidden_dynamic_lds_size
    .group_segment_fixed_size: 0
    .kernarg_segment_align: 8
    .kernarg_segment_size: 352
    .language:       OpenCL C
    .language_version:
      - 2
      - 0
    .max_flat_workgroup_size: 1024
    .name:           _ZN9rocsolver6v33100L41conj_nonunit_backward_substitution_kernelI19rocblas_complex_numIdElPKPS3_EEvT0_S7_T1_S7_S7_llS8_S7_S7_ll
    .private_segment_fixed_size: 0
    .sgpr_count:     22
    .sgpr_spill_count: 0
    .symbol:         _ZN9rocsolver6v33100L41conj_nonunit_backward_substitution_kernelI19rocblas_complex_numIdElPKPS3_EEvT0_S7_T1_S7_S7_llS8_S7_S7_ll.kd
    .uniform_work_group_size: 1
    .uses_dynamic_stack: false
    .vgpr_count:     26
    .vgpr_spill_count: 0
    .wavefront_size: 32
  - .args:
      - .offset:         0
        .size:           8
        .value_kind:     by_value
      - .offset:         8
        .size:           8
        .value_kind:     by_value
      - .address_space:  global
        .offset:         16
        .size:           8
        .value_kind:     global_buffer
      - .offset:         24
        .size:           8
        .value_kind:     by_value
      - .offset:         32
        .size:           8
        .value_kind:     by_value
      - .offset:         40
        .size:           8
        .value_kind:     by_value
      - .offset:         48
        .size:           8
        .value_kind:     by_value
      - .address_space:  global
        .offset:         56
        .size:           8
        .value_kind:     global_buffer
      - .offset:         64
        .size:           8
        .value_kind:     by_value
      - .offset:         72
        .size:           8
        .value_kind:     by_value
      - .offset:         80
        .size:           8
        .value_kind:     by_value
      - .offset:         88
        .size:           8
        .value_kind:     by_value
      - .offset:         96
        .size:           4
        .value_kind:     hidden_block_count_x
      - .offset:         100
        .size:           4
        .value_kind:     hidden_block_count_y
      - .offset:         104
        .size:           4
        .value_kind:     hidden_block_count_z
      - .offset:         108
        .size:           2
        .value_kind:     hidden_group_size_x
      - .offset:         110
        .size:           2
        .value_kind:     hidden_group_size_y
      - .offset:         112
        .size:           2
        .value_kind:     hidden_group_size_z
      - .offset:         114
        .size:           2
        .value_kind:     hidden_remainder_x
      - .offset:         116
        .size:           2
        .value_kind:     hidden_remainder_y
      - .offset:         118
        .size:           2
        .value_kind:     hidden_remainder_z
      - .offset:         136
        .size:           8
        .value_kind:     hidden_global_offset_x
      - .offset:         144
        .size:           8
        .value_kind:     hidden_global_offset_y
      - .offset:         152
        .size:           8
        .value_kind:     hidden_global_offset_z
      - .offset:         160
        .size:           2
        .value_kind:     hidden_grid_dims
      - .offset:         216
        .size:           4
        .value_kind:     hidden_dynamic_lds_size
    .group_segment_fixed_size: 0
    .kernarg_segment_align: 8
    .kernarg_segment_size: 352
    .language:       OpenCL C
    .language_version:
      - 2
      - 0
    .max_flat_workgroup_size: 1024
    .name:           _ZN9rocsolver6v33100L33unit_backward_substitution_kernelI19rocblas_complex_numIdElPKPS3_EEvT0_S7_T1_S7_S7_llS8_S7_S7_ll
    .private_segment_fixed_size: 0
    .sgpr_count:     22
    .sgpr_spill_count: 0
    .symbol:         _ZN9rocsolver6v33100L33unit_backward_substitution_kernelI19rocblas_complex_numIdElPKPS3_EEvT0_S7_T1_S7_S7_llS8_S7_S7_ll.kd
    .uniform_work_group_size: 1
    .uses_dynamic_stack: false
    .vgpr_count:     24
    .vgpr_spill_count: 0
    .wavefront_size: 32
  - .args:
      - .offset:         0
        .size:           8
        .value_kind:     by_value
      - .offset:         8
        .size:           8
        .value_kind:     by_value
      - .address_space:  global
        .offset:         16
        .size:           8
        .value_kind:     global_buffer
      - .offset:         24
        .size:           8
        .value_kind:     by_value
      - .offset:         32
        .size:           8
        .value_kind:     by_value
      - .offset:         40
        .size:           8
        .value_kind:     by_value
      - .offset:         48
        .size:           8
        .value_kind:     by_value
      - .address_space:  global
        .offset:         56
        .size:           8
        .value_kind:     global_buffer
      - .offset:         64
        .size:           8
        .value_kind:     by_value
      - .offset:         72
        .size:           8
        .value_kind:     by_value
      - .offset:         80
        .size:           8
        .value_kind:     by_value
      - .offset:         88
        .size:           8
        .value_kind:     by_value
      - .offset:         96
        .size:           4
        .value_kind:     hidden_block_count_x
      - .offset:         100
        .size:           4
        .value_kind:     hidden_block_count_y
      - .offset:         104
        .size:           4
        .value_kind:     hidden_block_count_z
      - .offset:         108
        .size:           2
        .value_kind:     hidden_group_size_x
      - .offset:         110
        .size:           2
        .value_kind:     hidden_group_size_y
      - .offset:         112
        .size:           2
        .value_kind:     hidden_group_size_z
      - .offset:         114
        .size:           2
        .value_kind:     hidden_remainder_x
      - .offset:         116
        .size:           2
        .value_kind:     hidden_remainder_y
      - .offset:         118
        .size:           2
        .value_kind:     hidden_remainder_z
      - .offset:         136
        .size:           8
        .value_kind:     hidden_global_offset_x
      - .offset:         144
        .size:           8
        .value_kind:     hidden_global_offset_y
      - .offset:         152
        .size:           8
        .value_kind:     hidden_global_offset_z
      - .offset:         160
        .size:           2
        .value_kind:     hidden_grid_dims
      - .offset:         216
        .size:           4
        .value_kind:     hidden_dynamic_lds_size
    .group_segment_fixed_size: 0
    .kernarg_segment_align: 8
    .kernarg_segment_size: 352
    .language:       OpenCL C
    .language_version:
      - 2
      - 0
    .max_flat_workgroup_size: 1024
    .name:           _ZN9rocsolver6v33100L36nonunit_backward_substitution_kernelI19rocblas_complex_numIdElPKPS3_EEvT0_S7_T1_S7_S7_llS8_S7_S7_ll
    .private_segment_fixed_size: 0
    .sgpr_count:     22
    .sgpr_spill_count: 0
    .symbol:         _ZN9rocsolver6v33100L36nonunit_backward_substitution_kernelI19rocblas_complex_numIdElPKPS3_EEvT0_S7_T1_S7_S7_llS8_S7_S7_ll.kd
    .uniform_work_group_size: 1
    .uses_dynamic_stack: false
    .vgpr_count:     26
    .vgpr_spill_count: 0
    .wavefront_size: 32
amdhsa.target:   amdgcn-amd-amdhsa--gfx1250
amdhsa.version:
  - 1
  - 2
...

	.end_amdgpu_metadata
